;; amdgpu-corpus repo=zjin-lcf/HeCBench kind=compiled arch=gfx1250 opt=O3
	.amdgcn_target "amdgcn-amd-amdhsa--gfx1250"
	.amdhsa_code_object_version 6
	.text
	.protected	_Z16StreamCompactioniiifPiPKiS_ ; -- Begin function _Z16StreamCompactioniiifPiPKiS_
	.globl	_Z16StreamCompactioniiifPiPKiS_
	.p2align	8
	.type	_Z16StreamCompactioniiifPiPKiS_,@function
_Z16StreamCompactioniiifPiPKiS_:        ; @_Z16StreamCompactioniiifPiPKiS_
; %bb.0:
	s_load_b128 s[4:7], s[0:1], 0x0
	s_bfe_u32 s3, ttmp6, 0x4000c
	s_and_b32 s8, ttmp6, 15
	s_add_co_i32 s3, s3, 1
	s_getreg_b32 s9, hwreg(HW_REG_IB_STS2, 6, 4)
	s_mul_i32 s3, ttmp9, s3
	s_delay_alu instid0(SALU_CYCLE_1) | instskip(SKIP_3) | instid1(SALU_CYCLE_3)
	s_add_co_i32 s8, s8, s3
	s_cmp_eq_u32 s9, 0
	s_wait_kmcnt 0x0
	s_cvt_f32_i32 s2, s6
	s_mul_f32 s2, s7, s2
	s_delay_alu instid0(SALU_CYCLE_3) | instskip(SKIP_1) | instid1(SALU_CYCLE_2)
	s_cvt_i32_f32 s7, s2
	s_cselect_b32 s2, ttmp9, s8
	s_add_co_i32 s2, s7, s2
	s_delay_alu instid0(SALU_CYCLE_1)
	s_cmp_ge_i32 s2, s6
	s_cbranch_scc1 .LBB0_627
; %bb.1:
	s_clause 0x2
	s_load_b32 s3, s[0:1], 0x34
	s_load_b128 s[8:11], s[0:1], 0x10
	s_load_b96 s[12:14], s[0:1], 0x20
	s_wait_xcnt 0x0
	v_cmp_eq_u32_e64 s0, 0, v0
	v_lshl_add_u32 v1, v0, 2, 0
	v_lshl_or_b32 v34, v0, 1, 1
	v_dual_mov_b32 v36, 0 :: v_dual_add_nc_u32 v35, 1, v0
	s_wait_kmcnt 0x0
	s_and_b32 s15, s3, 0xffff
	s_delay_alu instid0(SALU_CYCLE_1)
	s_lshl_b32 s1, s15, 2
	s_lshl_b32 s18, s15, 5
	s_add_co_i32 s19, s1, 0
	s_cmp_gt_u32 s15, 1
	s_cselect_b32 s20, -1, 0
	s_add_co_i32 s1, s15, -1
	s_bfe_u32 s21, s3, 0xf0001
	v_cmp_eq_u32_e64 s1, s1, v0
	s_branch .LBB0_3
.LBB0_2:                                ;   in Loop: Header=BB0_3 Depth=1
	s_wait_xcnt 0x0
	s_or_b32 exec_lo, exec_lo, s3
	s_add_co_i32 s2, s2, s14
	s_delay_alu instid0(SALU_CYCLE_1)
	s_cmp_ge_i32 s2, s6
	s_cbranch_scc1 .LBB0_627
.LBB0_3:                                ; =>This Loop Header: Depth=1
                                        ;     Child Loop BB0_137 Depth 2
                                        ;     Child Loop BB0_140 Depth 2
	;; [unrolled: 1-line block ×67, first 2 shown]
	s_and_saveexec_b32 s3, s0
; %bb.4:                                ;   in Loop: Header=BB0_3 Depth=1
	v_mov_b32_e32 v2, s19
	ds_store_b32 v2, v36
; %bb.5:                                ;   in Loop: Header=BB0_3 Depth=1
	s_or_b32 exec_lo, exec_lo, s3
	s_sub_co_i32 s3, s2, s7
	s_wait_dscnt 0x0
	v_mad_u32 v38, s18, s3, v0
	s_mov_b32 s3, exec_lo
	s_barrier_signal -1
	s_barrier_wait -1
                                        ; implicit-def: $vgpr2_vgpr3_vgpr4_vgpr5_vgpr6_vgpr7_vgpr8_vgpr9_vgpr10_vgpr11_vgpr12_vgpr13_vgpr14_vgpr15_vgpr16_vgpr17_vgpr18_vgpr19_vgpr20_vgpr21_vgpr22_vgpr23_vgpr24_vgpr25_vgpr26_vgpr27_vgpr28_vgpr29_vgpr30_vgpr31_vgpr32_vgpr33
	s_delay_alu instid0(VALU_DEP_1)
	v_cmpx_le_i32_e64 s4, v38
	s_xor_b32 s3, exec_lo, s3
; %bb.6:                                ;   in Loop: Header=BB0_3 Depth=1
	v_mov_b32_e32 v2, s5
; %bb.7:                                ;   in Loop: Header=BB0_3 Depth=1
	s_or_saveexec_b32 s3, s3
	v_mov_b32_e32 v37, 0
	s_xor_b32 exec_lo, exec_lo, s3
	s_cbranch_execz .LBB0_9
; %bb.8:                                ;   in Loop: Header=BB0_3 Depth=1
	global_load_b32 v2, v38, s[10:11] scale_offset
	s_wait_loadcnt 0x0
	v_cmp_ne_u32_e32 vcc_lo, s5, v2
	v_cndmask_b32_e64 v37, 0, 1, vcc_lo
.LBB0_9:                                ;   in Loop: Header=BB0_3 Depth=1
	s_wait_xcnt 0x0
	s_or_b32 exec_lo, exec_lo, s3
	v_add_nc_u32_e32 v38, s15, v38
	s_mov_b32 s3, exec_lo
	s_delay_alu instid0(VALU_DEP_1)
	v_cmpx_le_i32_e64 s4, v38
	s_xor_b32 s3, exec_lo, s3
; %bb.10:                               ;   in Loop: Header=BB0_3 Depth=1
	v_mov_b32_e32 v3, s5
; %bb.11:                               ;   in Loop: Header=BB0_3 Depth=1
	s_and_not1_saveexec_b32 s3, s3
	s_cbranch_execz .LBB0_13
; %bb.12:                               ;   in Loop: Header=BB0_3 Depth=1
	global_load_b32 v3, v38, s[10:11] scale_offset
	s_wait_loadcnt 0x0
	v_cmp_ne_u32_e32 vcc_lo, s5, v3
	v_add_co_ci_u32_e64 v37, null, 0, v37, vcc_lo
.LBB0_13:                               ;   in Loop: Header=BB0_3 Depth=1
	s_wait_xcnt 0x0
	s_or_b32 exec_lo, exec_lo, s3
	v_add_nc_u32_e32 v38, s15, v38
	s_mov_b32 s3, exec_lo
	s_delay_alu instid0(VALU_DEP_1)
	v_cmpx_le_i32_e64 s4, v38
	s_xor_b32 s3, exec_lo, s3
; %bb.14:                               ;   in Loop: Header=BB0_3 Depth=1
	v_mov_b32_e32 v4, s5
; %bb.15:                               ;   in Loop: Header=BB0_3 Depth=1
	s_and_not1_saveexec_b32 s3, s3
	s_cbranch_execz .LBB0_17
; %bb.16:                               ;   in Loop: Header=BB0_3 Depth=1
	global_load_b32 v4, v38, s[10:11] scale_offset
	s_wait_loadcnt 0x0
	v_cmp_ne_u32_e32 vcc_lo, s5, v4
	v_add_co_ci_u32_e64 v37, null, 0, v37, vcc_lo
.LBB0_17:                               ;   in Loop: Header=BB0_3 Depth=1
	;; [unrolled: 18-line block ×22, first 2 shown]
	s_wait_xcnt 0x0
	s_or_b32 exec_lo, exec_lo, s3
	v_add_nc_u32_e32 v38, s15, v38
	s_mov_b32 s3, exec_lo
	s_delay_alu instid0(VALU_DEP_1)
	v_cmpx_le_i32_e64 s4, v38
	s_xor_b32 s3, exec_lo, s3
; %bb.98:                               ;   in Loop: Header=BB0_3 Depth=1
	v_mov_b32_e32 v25, s5
; %bb.99:                               ;   in Loop: Header=BB0_3 Depth=1
	s_and_not1_saveexec_b32 s3, s3
	s_cbranch_execz .LBB0_101
; %bb.100:                              ;   in Loop: Header=BB0_3 Depth=1
	global_load_b32 v25, v38, s[10:11] scale_offset
	s_wait_loadcnt 0x0
	v_cmp_ne_u32_e32 vcc_lo, s5, v25
	v_add_co_ci_u32_e64 v37, null, 0, v37, vcc_lo
.LBB0_101:                              ;   in Loop: Header=BB0_3 Depth=1
	s_wait_xcnt 0x0
	s_or_b32 exec_lo, exec_lo, s3
	v_add_nc_u32_e32 v38, s15, v38
	s_mov_b32 s3, exec_lo
	s_delay_alu instid0(VALU_DEP_1)
	v_cmpx_le_i32_e64 s4, v38
	s_xor_b32 s3, exec_lo, s3
; %bb.102:                              ;   in Loop: Header=BB0_3 Depth=1
	v_mov_b32_e32 v26, s5
; %bb.103:                              ;   in Loop: Header=BB0_3 Depth=1
	s_and_not1_saveexec_b32 s3, s3
	s_cbranch_execz .LBB0_105
; %bb.104:                              ;   in Loop: Header=BB0_3 Depth=1
	global_load_b32 v26, v38, s[10:11] scale_offset
	s_wait_loadcnt 0x0
	v_cmp_ne_u32_e32 vcc_lo, s5, v26
	v_add_co_ci_u32_e64 v37, null, 0, v37, vcc_lo
.LBB0_105:                              ;   in Loop: Header=BB0_3 Depth=1
	s_wait_xcnt 0x0
	s_or_b32 exec_lo, exec_lo, s3
	v_add_nc_u32_e32 v38, s15, v38
	s_mov_b32 s3, exec_lo
	s_delay_alu instid0(VALU_DEP_1)
	v_cmpx_le_i32_e64 s4, v38
	s_xor_b32 s3, exec_lo, s3
; %bb.106:                              ;   in Loop: Header=BB0_3 Depth=1
	v_mov_b32_e32 v27, s5
; %bb.107:                              ;   in Loop: Header=BB0_3 Depth=1
	;; [unrolled: 18-line block ×7, first 2 shown]
	s_and_not1_saveexec_b32 s3, s3
	s_cbranch_execz .LBB0_129
; %bb.128:                              ;   in Loop: Header=BB0_3 Depth=1
	global_load_b32 v32, v38, s[10:11] scale_offset
	s_wait_loadcnt 0x0
	v_cmp_ne_u32_e32 vcc_lo, s5, v32
	v_add_co_ci_u32_e64 v37, null, 0, v37, vcc_lo
.LBB0_129:                              ;   in Loop: Header=BB0_3 Depth=1
	s_wait_xcnt 0x0
	s_or_b32 exec_lo, exec_lo, s3
	v_add_nc_u32_e32 v38, s15, v38
	s_mov_b32 s3, exec_lo
	s_delay_alu instid0(VALU_DEP_1)
	v_cmpx_le_i32_e64 s4, v38
	s_xor_b32 s3, exec_lo, s3
; %bb.130:                              ;   in Loop: Header=BB0_3 Depth=1
	v_mov_b32_e32 v33, s5
                                        ; implicit-def: $vgpr38
; %bb.131:                              ;   in Loop: Header=BB0_3 Depth=1
	s_and_not1_saveexec_b32 s3, s3
	s_cbranch_execz .LBB0_133
; %bb.132:                              ;   in Loop: Header=BB0_3 Depth=1
	global_load_b32 v33, v38, s[10:11] scale_offset
	s_wait_loadcnt 0x0
	v_cmp_ne_u32_e32 vcc_lo, s5, v33
	v_add_co_ci_u32_e64 v37, null, 0, v37, vcc_lo
.LBB0_133:                              ;   in Loop: Header=BB0_3 Depth=1
	s_wait_xcnt 0x0
	s_or_b32 exec_lo, exec_lo, s3
	s_delay_alu instid0(SALU_CYCLE_1)
	s_and_not1_b32 vcc_lo, exec_lo, s20
	s_mov_b32 s3, s21
	ds_store_b32 v1, v37
	s_wait_dscnt 0x0
	s_barrier_signal -1
	s_barrier_wait -1
	s_cbranch_vccz .LBB0_137
.LBB0_134:                              ;   in Loop: Header=BB0_3 Depth=1
	s_and_saveexec_b32 s22, s0
	s_cbranch_execz .LBB0_147
; %bb.135:                              ;   in Loop: Header=BB0_3 Depth=1
	ds_load_b32 v37, v36
	s_ashr_i32 s3, s2, 31
	s_delay_alu instid0(SALU_CYCLE_1) | instskip(NEXT) | instid1(SALU_CYCLE_1)
	s_lshl_b64 s[16:17], s[2:3], 2
	s_add_nc_u64 s[16:17], s[12:13], s[16:17]
	s_branch .LBB0_140
.LBB0_136:                              ;   in Loop: Header=BB0_137 Depth=2
	s_or_b32 exec_lo, exec_lo, s16
	s_lshr_b32 s16, s3, 1
	s_cmp_lt_u32 s3, 2
	s_mov_b32 s3, s16
	s_wait_dscnt 0x0
	s_barrier_signal -1
	s_barrier_wait -1
	s_cbranch_scc1 .LBB0_134
.LBB0_137:                              ;   Parent Loop BB0_3 Depth=1
                                        ; =>  This Inner Loop Header: Depth=2
	s_mov_b32 s16, exec_lo
	v_cmpx_gt_u32_e64 s3, v0
	s_cbranch_execz .LBB0_136
; %bb.138:                              ;   in Loop: Header=BB0_137 Depth=2
	v_lshl_add_u32 v37, s3, 2, v1
	ds_load_b32 v37, v37
	ds_load_b32 v38, v1
	s_wait_dscnt 0x0
	v_add_nc_u32_e32 v37, v38, v37
	ds_store_b32 v1, v37
	s_branch .LBB0_136
.LBB0_139:                              ;   in Loop: Header=BB0_140 Depth=2
	s_wait_xcnt 0x0
	s_or_b32 exec_lo, exec_lo, s3
	s_wait_loadcnt 0x0
	v_readfirstlane_b32 s3, v38
	s_cmp_eq_u32 s3, 0
	s_cbranch_scc0 .LBB0_142
.LBB0_140:                              ;   Parent Loop BB0_3 Depth=1
                                        ; =>  This Inner Loop Header: Depth=2
	v_mbcnt_lo_u32_b32 v38, exec_lo, 0
	s_delay_alu instid0(VALU_DEP_1)
	v_cmp_eq_u32_e32 vcc_lo, 0, v38
                                        ; implicit-def: $vgpr38
	s_and_saveexec_b32 s3, vcc_lo
	s_cbranch_execz .LBB0_139
; %bb.141:                              ;   in Loop: Header=BB0_140 Depth=2
	global_load_b32 v38, v36, s[16:17] scope:SCOPE_DEV
	s_branch .LBB0_139
.LBB0_142:                              ;   in Loop: Header=BB0_3 Depth=1
	s_wait_dscnt 0x0
	v_add_nc_u32_e32 v37, s3, v37
	s_mov_b32 s24, exec_lo
	s_mov_b32 s23, 0
.LBB0_143:                              ;   Parent Loop BB0_3 Depth=1
                                        ; =>  This Inner Loop Header: Depth=2
	s_ctz_i32_b32 s25, s24
	s_delay_alu instid0(VALU_DEP_1) | instid1(SALU_CYCLE_1)
	v_readlane_b32 s26, v37, s25
	s_lshl_b32 s25, 1, s25
	s_delay_alu instid0(SALU_CYCLE_1)
	s_and_not1_b32 s24, s24, s25
	s_add_co_i32 s23, s23, s26
	s_cmp_lg_u32 s24, 0
	s_cbranch_scc1 .LBB0_143
; %bb.144:                              ;   in Loop: Header=BB0_3 Depth=1
	v_mbcnt_lo_u32_b32 v37, exec_lo, 0
	s_mov_b32 s24, exec_lo
	s_delay_alu instid0(VALU_DEP_1)
	v_cmpx_eq_u32_e32 0, v37
	s_xor_b32 s24, exec_lo, s24
	s_cbranch_execz .LBB0_146
; %bb.145:                              ;   in Loop: Header=BB0_3 Depth=1
	v_mov_b32_e32 v37, s23
	global_atomic_add_u32 v36, v37, s[16:17] offset:4 scope:SCOPE_DEV
.LBB0_146:                              ;   in Loop: Header=BB0_3 Depth=1
	s_wait_xcnt 0x0
	s_or_b32 exec_lo, exec_lo, s24
	s_add_co_i32 s3, s3, -1
	s_delay_alu instid0(SALU_CYCLE_1)
	v_dual_mov_b32 v37, s19 :: v_dual_mov_b32 v38, s3
	ds_store_b32 v37, v38
.LBB0_147:                              ;   in Loop: Header=BB0_3 Depth=1
	s_or_b32 exec_lo, exec_lo, s22
	v_cmp_ne_u32_e32 vcc_lo, s5, v2
	s_mov_b32 s3, 1
	s_wait_storecnt_dscnt 0x0
	s_barrier_signal -1
	s_barrier_wait -1
	v_cndmask_b32_e64 v37, 0, 1, vcc_lo
	s_and_not1_b32 vcc_lo, exec_lo, s20
	ds_store_b32 v1, v37
	s_cbranch_vccnz .LBB0_153
; %bb.148:                              ;   in Loop: Header=BB0_3 Depth=1
	s_mov_b32 s16, s15
.LBB0_149:                              ;   Parent Loop BB0_3 Depth=1
                                        ; =>  This Inner Loop Header: Depth=2
	s_delay_alu instid0(SALU_CYCLE_1)
	s_lshr_b32 s17, s16, 1
	s_mov_b32 s22, exec_lo
	s_wait_dscnt 0x0
	s_barrier_signal -1
	s_barrier_wait -1
	v_cmpx_gt_u32_e64 s17, v0
	s_cbranch_execz .LBB0_151
; %bb.150:                              ;   in Loop: Header=BB0_149 Depth=2
	v_mul_lo_u32 v38, s3, v34
	s_delay_alu instid0(VALU_DEP_1) | instskip(NEXT) | instid1(VALU_DEP_1)
	v_lshlrev_b32_e32 v38, 2, v38
	v_add3_u32 v38, 0, v38, -4
	s_delay_alu instid0(VALU_DEP_1)
	v_lshl_add_u32 v39, s3, 2, v38
	ds_load_b32 v38, v38
	ds_load_b32 v40, v39
	s_wait_dscnt 0x0
	v_add_nc_u32_e32 v38, v40, v38
	ds_store_b32 v39, v38
.LBB0_151:                              ;   in Loop: Header=BB0_149 Depth=2
	s_or_b32 exec_lo, exec_lo, s22
	s_lshl_b32 s3, s3, 1
	s_cmp_lt_u32 s16, 4
	s_cbranch_scc1 .LBB0_153
; %bb.152:                              ;   in Loop: Header=BB0_149 Depth=2
	s_mov_b32 s16, s17
	s_branch .LBB0_149
.LBB0_153:                              ;   in Loop: Header=BB0_3 Depth=1
	s_cmp_lt_i32 s3, s15
	s_cselect_b32 s16, -1, 0
	s_delay_alu instid0(SALU_CYCLE_1) | instskip(NEXT) | instid1(VALU_DEP_1)
	v_cndmask_b32_e64 v38, 0, 1, s16
	v_readfirstlane_b32 s16, v38
	s_lshl_b32 s17, s3, s16
	s_delay_alu instid0(SALU_CYCLE_1) | instskip(NEXT) | instid1(SALU_CYCLE_1)
	s_ashr_i32 s3, s17, 1
	s_cmp_lt_i32 s3, 1
	s_cbranch_scc1 .LBB0_158
; %bb.154:                              ;   in Loop: Header=BB0_3 Depth=1
	s_mov_b32 s16, 0
	s_branch .LBB0_156
.LBB0_155:                              ;   in Loop: Header=BB0_156 Depth=2
	s_or_b32 exec_lo, exec_lo, s23
	s_lshl_b32 s16, s16, 1
	s_mov_b32 s17, s22
	s_or_b32 s16, s16, 2
	s_delay_alu instid0(SALU_CYCLE_1)
	s_cmp_ge_i32 s16, s3
	s_cbranch_scc1 .LBB0_158
.LBB0_156:                              ;   Parent Loop BB0_3 Depth=1
                                        ; =>  This Inner Loop Header: Depth=2
	s_ashr_i32 s22, s17, 1
	s_mov_b32 s23, exec_lo
	s_wait_dscnt 0x0
	s_barrier_signal -1
	s_barrier_wait -1
	v_cmpx_ge_u32_e64 s16, v0
	s_cbranch_execz .LBB0_155
; %bb.157:                              ;   in Loop: Header=BB0_156 Depth=2
	v_mul_lo_u32 v38, s22, v35
	s_and_b32 s17, s17, -4
	s_delay_alu instid0(VALU_DEP_1) | instskip(NEXT) | instid1(VALU_DEP_1)
	v_lshlrev_b32_e32 v38, 2, v38
	v_add3_u32 v38, 0, v38, -4
	s_delay_alu instid0(VALU_DEP_1)
	v_add_nc_u32_e32 v39, s17, v38
	ds_load_b32 v38, v38
	ds_load_b32 v40, v39
	s_wait_dscnt 0x0
	v_add_nc_u32_e32 v38, v40, v38
	ds_store_b32 v39, v38
	s_branch .LBB0_155
.LBB0_158:                              ;   in Loop: Header=BB0_3 Depth=1
	v_mov_b32_e32 v39, s19
	s_wait_dscnt 0x0
	s_barrier_signal -1
	s_barrier_wait -1
	ds_load_b32 v38, v1
	ds_load_b32 v39, v39
	s_wait_dscnt 0x0
	s_barrier_signal -1
	s_barrier_wait -1
	s_and_saveexec_b32 s3, s1
	s_cbranch_execz .LBB0_160
; %bb.159:                              ;   in Loop: Header=BB0_3 Depth=1
	v_mov_b32_e32 v40, s19
	ds_load_b32 v41, v1
	ds_load_b32 v42, v40
	s_wait_dscnt 0x0
	v_add_nc_u32_e32 v41, v42, v41
	ds_store_b32 v40, v41
.LBB0_160:                              ;   in Loop: Header=BB0_3 Depth=1
	s_or_b32 exec_lo, exec_lo, s3
	s_delay_alu instid0(SALU_CYCLE_1)
	s_mov_b32 s3, exec_lo
	v_cmpx_ne_u32_e64 s5, v2
	s_cbranch_execz .LBB0_162
; %bb.161:                              ;   in Loop: Header=BB0_3 Depth=1
	v_sub_nc_u32_e32 v37, v38, v37
	s_delay_alu instid0(VALU_DEP_1)
	v_add_nc_u32_e32 v37, v37, v39
	global_store_b32 v37, v2, s[8:9] scale_offset
.LBB0_162:                              ;   in Loop: Header=BB0_3 Depth=1
	s_wait_xcnt 0x0
	s_or_b32 exec_lo, exec_lo, s3
	v_cmp_ne_u32_e32 vcc_lo, s5, v3
	s_mov_b32 s3, 1
	v_cndmask_b32_e64 v2, 0, 1, vcc_lo
	s_and_not1_b32 vcc_lo, exec_lo, s20
	ds_store_b32 v1, v2
	s_cbranch_vccnz .LBB0_168
; %bb.163:                              ;   in Loop: Header=BB0_3 Depth=1
	s_mov_b32 s16, s15
.LBB0_164:                              ;   Parent Loop BB0_3 Depth=1
                                        ; =>  This Inner Loop Header: Depth=2
	s_delay_alu instid0(SALU_CYCLE_1)
	s_lshr_b32 s17, s16, 1
	s_mov_b32 s22, exec_lo
	s_wait_storecnt_dscnt 0x0
	s_barrier_signal -1
	s_barrier_wait -1
	v_cmpx_gt_u32_e64 s17, v0
	s_cbranch_execz .LBB0_166
; %bb.165:                              ;   in Loop: Header=BB0_164 Depth=2
	v_mul_lo_u32 v37, s3, v34
	s_delay_alu instid0(VALU_DEP_1) | instskip(NEXT) | instid1(VALU_DEP_1)
	v_lshlrev_b32_e32 v37, 2, v37
	v_add3_u32 v37, 0, v37, -4
	s_delay_alu instid0(VALU_DEP_1)
	v_lshl_add_u32 v38, s3, 2, v37
	ds_load_b32 v37, v37
	ds_load_b32 v39, v38
	s_wait_dscnt 0x0
	v_add_nc_u32_e32 v37, v39, v37
	ds_store_b32 v38, v37
.LBB0_166:                              ;   in Loop: Header=BB0_164 Depth=2
	s_or_b32 exec_lo, exec_lo, s22
	s_lshl_b32 s3, s3, 1
	s_cmp_gt_u32 s16, 3
	s_cbranch_scc0 .LBB0_168
; %bb.167:                              ;   in Loop: Header=BB0_164 Depth=2
	s_mov_b32 s16, s17
	s_branch .LBB0_164
.LBB0_168:                              ;   in Loop: Header=BB0_3 Depth=1
	s_cmp_lt_i32 s3, s15
	s_cselect_b32 s16, -1, 0
	s_delay_alu instid0(SALU_CYCLE_1) | instskip(NEXT) | instid1(VALU_DEP_1)
	v_cndmask_b32_e64 v37, 0, 1, s16
	v_readfirstlane_b32 s16, v37
	s_lshl_b32 s17, s3, s16
	s_delay_alu instid0(SALU_CYCLE_1) | instskip(NEXT) | instid1(SALU_CYCLE_1)
	s_ashr_i32 s3, s17, 1
	s_cmp_lt_i32 s3, 1
	s_cbranch_scc1 .LBB0_173
; %bb.169:                              ;   in Loop: Header=BB0_3 Depth=1
	s_mov_b32 s16, 0
	s_branch .LBB0_171
.LBB0_170:                              ;   in Loop: Header=BB0_171 Depth=2
	s_or_b32 exec_lo, exec_lo, s23
	s_lshl_b32 s16, s16, 1
	s_mov_b32 s17, s22
	s_or_b32 s16, s16, 2
	s_delay_alu instid0(SALU_CYCLE_1)
	s_cmp_lt_i32 s16, s3
	s_cbranch_scc0 .LBB0_173
.LBB0_171:                              ;   Parent Loop BB0_3 Depth=1
                                        ; =>  This Inner Loop Header: Depth=2
	s_ashr_i32 s22, s17, 1
	s_mov_b32 s23, exec_lo
	s_wait_storecnt_dscnt 0x0
	s_barrier_signal -1
	s_barrier_wait -1
	v_cmpx_ge_u32_e64 s16, v0
	s_cbranch_execz .LBB0_170
; %bb.172:                              ;   in Loop: Header=BB0_171 Depth=2
	v_mul_lo_u32 v37, s22, v35
	s_and_b32 s17, s17, -4
	s_delay_alu instid0(VALU_DEP_1) | instskip(NEXT) | instid1(VALU_DEP_1)
	v_lshlrev_b32_e32 v37, 2, v37
	v_add3_u32 v37, 0, v37, -4
	s_delay_alu instid0(VALU_DEP_1)
	v_add_nc_u32_e32 v38, s17, v37
	ds_load_b32 v37, v37
	ds_load_b32 v39, v38
	s_wait_dscnt 0x0
	v_add_nc_u32_e32 v37, v39, v37
	ds_store_b32 v38, v37
	s_branch .LBB0_170
.LBB0_173:                              ;   in Loop: Header=BB0_3 Depth=1
	v_mov_b32_e32 v38, s19
	s_wait_storecnt_dscnt 0x0
	s_barrier_signal -1
	s_barrier_wait -1
	ds_load_b32 v37, v1
	ds_load_b32 v38, v38
	s_wait_dscnt 0x0
	s_barrier_signal -1
	s_barrier_wait -1
	s_and_saveexec_b32 s3, s1
	s_cbranch_execz .LBB0_175
; %bb.174:                              ;   in Loop: Header=BB0_3 Depth=1
	v_mov_b32_e32 v39, s19
	ds_load_b32 v40, v1
	ds_load_b32 v41, v39
	s_wait_dscnt 0x0
	v_add_nc_u32_e32 v40, v41, v40
	ds_store_b32 v39, v40
.LBB0_175:                              ;   in Loop: Header=BB0_3 Depth=1
	s_or_b32 exec_lo, exec_lo, s3
	s_delay_alu instid0(SALU_CYCLE_1)
	s_mov_b32 s3, exec_lo
	v_cmpx_ne_u32_e64 s5, v3
	s_cbranch_execz .LBB0_177
; %bb.176:                              ;   in Loop: Header=BB0_3 Depth=1
	v_sub_nc_u32_e32 v2, v37, v2
	s_delay_alu instid0(VALU_DEP_1)
	v_add_nc_u32_e32 v2, v2, v38
	global_store_b32 v2, v3, s[8:9] scale_offset
.LBB0_177:                              ;   in Loop: Header=BB0_3 Depth=1
	s_wait_xcnt 0x0
	s_or_b32 exec_lo, exec_lo, s3
	v_cmp_ne_u32_e32 vcc_lo, s5, v4
	s_mov_b32 s3, 1
	v_cndmask_b32_e64 v2, 0, 1, vcc_lo
	s_and_not1_b32 vcc_lo, exec_lo, s20
	ds_store_b32 v1, v2
	s_cbranch_vccnz .LBB0_183
; %bb.178:                              ;   in Loop: Header=BB0_3 Depth=1
	s_mov_b32 s16, s15
.LBB0_179:                              ;   Parent Loop BB0_3 Depth=1
                                        ; =>  This Inner Loop Header: Depth=2
	s_delay_alu instid0(SALU_CYCLE_1)
	s_lshr_b32 s17, s16, 1
	s_mov_b32 s22, exec_lo
	s_wait_storecnt_dscnt 0x0
	s_barrier_signal -1
	s_barrier_wait -1
	v_cmpx_gt_u32_e64 s17, v0
	s_cbranch_execz .LBB0_181
; %bb.180:                              ;   in Loop: Header=BB0_179 Depth=2
	v_mul_lo_u32 v3, s3, v34
	s_delay_alu instid0(VALU_DEP_1) | instskip(NEXT) | instid1(VALU_DEP_1)
	v_lshlrev_b32_e32 v3, 2, v3
	v_add3_u32 v3, 0, v3, -4
	s_delay_alu instid0(VALU_DEP_1)
	v_lshl_add_u32 v37, s3, 2, v3
	ds_load_b32 v3, v3
	ds_load_b32 v38, v37
	s_wait_dscnt 0x0
	v_add_nc_u32_e32 v3, v38, v3
	ds_store_b32 v37, v3
.LBB0_181:                              ;   in Loop: Header=BB0_179 Depth=2
	s_or_b32 exec_lo, exec_lo, s22
	s_lshl_b32 s3, s3, 1
	s_cmp_gt_u32 s16, 3
	s_cbranch_scc0 .LBB0_183
; %bb.182:                              ;   in Loop: Header=BB0_179 Depth=2
	s_mov_b32 s16, s17
	s_branch .LBB0_179
.LBB0_183:                              ;   in Loop: Header=BB0_3 Depth=1
	s_cmp_lt_i32 s3, s15
	s_cselect_b32 s16, -1, 0
	s_delay_alu instid0(SALU_CYCLE_1) | instskip(NEXT) | instid1(VALU_DEP_1)
	v_cndmask_b32_e64 v3, 0, 1, s16
	v_readfirstlane_b32 s16, v3
	s_lshl_b32 s17, s3, s16
	s_delay_alu instid0(SALU_CYCLE_1) | instskip(NEXT) | instid1(SALU_CYCLE_1)
	s_ashr_i32 s3, s17, 1
	s_cmp_lt_i32 s3, 1
	s_cbranch_scc1 .LBB0_188
; %bb.184:                              ;   in Loop: Header=BB0_3 Depth=1
	s_mov_b32 s16, 0
	s_branch .LBB0_186
.LBB0_185:                              ;   in Loop: Header=BB0_186 Depth=2
	s_or_b32 exec_lo, exec_lo, s23
	s_lshl_b32 s16, s16, 1
	s_mov_b32 s17, s22
	s_or_b32 s16, s16, 2
	s_delay_alu instid0(SALU_CYCLE_1)
	s_cmp_lt_i32 s16, s3
	s_cbranch_scc0 .LBB0_188
.LBB0_186:                              ;   Parent Loop BB0_3 Depth=1
                                        ; =>  This Inner Loop Header: Depth=2
	s_ashr_i32 s22, s17, 1
	s_mov_b32 s23, exec_lo
	s_wait_storecnt_dscnt 0x0
	s_barrier_signal -1
	s_barrier_wait -1
	v_cmpx_ge_u32_e64 s16, v0
	s_cbranch_execz .LBB0_185
; %bb.187:                              ;   in Loop: Header=BB0_186 Depth=2
	v_mul_lo_u32 v3, s22, v35
	s_and_b32 s17, s17, -4
	s_delay_alu instid0(VALU_DEP_1) | instskip(NEXT) | instid1(VALU_DEP_1)
	v_lshlrev_b32_e32 v3, 2, v3
	v_add3_u32 v3, 0, v3, -4
	s_delay_alu instid0(VALU_DEP_1)
	v_add_nc_u32_e32 v37, s17, v3
	ds_load_b32 v3, v3
	ds_load_b32 v38, v37
	s_wait_dscnt 0x0
	v_add_nc_u32_e32 v3, v38, v3
	ds_store_b32 v37, v3
	s_branch .LBB0_185
.LBB0_188:                              ;   in Loop: Header=BB0_3 Depth=1
	v_mov_b32_e32 v37, s19
	s_wait_storecnt_dscnt 0x0
	s_barrier_signal -1
	s_barrier_wait -1
	ds_load_b32 v3, v1
	ds_load_b32 v37, v37
	s_wait_dscnt 0x0
	s_barrier_signal -1
	s_barrier_wait -1
	s_and_saveexec_b32 s3, s1
	s_cbranch_execz .LBB0_190
; %bb.189:                              ;   in Loop: Header=BB0_3 Depth=1
	v_mov_b32_e32 v38, s19
	ds_load_b32 v39, v1
	ds_load_b32 v40, v38
	s_wait_dscnt 0x0
	v_add_nc_u32_e32 v39, v40, v39
	ds_store_b32 v38, v39
.LBB0_190:                              ;   in Loop: Header=BB0_3 Depth=1
	s_or_b32 exec_lo, exec_lo, s3
	s_delay_alu instid0(SALU_CYCLE_1)
	s_mov_b32 s3, exec_lo
	v_cmpx_ne_u32_e64 s5, v4
	s_cbranch_execz .LBB0_192
; %bb.191:                              ;   in Loop: Header=BB0_3 Depth=1
	v_sub_nc_u32_e32 v2, v3, v2
	s_delay_alu instid0(VALU_DEP_1)
	v_add_nc_u32_e32 v2, v2, v37
	global_store_b32 v2, v4, s[8:9] scale_offset
.LBB0_192:                              ;   in Loop: Header=BB0_3 Depth=1
	s_wait_xcnt 0x0
	s_or_b32 exec_lo, exec_lo, s3
	v_cmp_ne_u32_e32 vcc_lo, s5, v5
	s_mov_b32 s3, 1
	v_cndmask_b32_e64 v2, 0, 1, vcc_lo
	s_and_not1_b32 vcc_lo, exec_lo, s20
	ds_store_b32 v1, v2
	s_cbranch_vccnz .LBB0_198
; %bb.193:                              ;   in Loop: Header=BB0_3 Depth=1
	s_mov_b32 s16, s15
.LBB0_194:                              ;   Parent Loop BB0_3 Depth=1
                                        ; =>  This Inner Loop Header: Depth=2
	s_delay_alu instid0(SALU_CYCLE_1)
	s_lshr_b32 s17, s16, 1
	s_mov_b32 s22, exec_lo
	s_wait_storecnt_dscnt 0x0
	s_barrier_signal -1
	s_barrier_wait -1
	v_cmpx_gt_u32_e64 s17, v0
	s_cbranch_execz .LBB0_196
; %bb.195:                              ;   in Loop: Header=BB0_194 Depth=2
	v_mul_lo_u32 v3, s3, v34
	s_delay_alu instid0(VALU_DEP_1) | instskip(NEXT) | instid1(VALU_DEP_1)
	v_lshlrev_b32_e32 v3, 2, v3
	v_add3_u32 v3, 0, v3, -4
	s_delay_alu instid0(VALU_DEP_1)
	v_lshl_add_u32 v4, s3, 2, v3
	ds_load_b32 v3, v3
	ds_load_b32 v37, v4
	s_wait_dscnt 0x0
	v_add_nc_u32_e32 v3, v37, v3
	ds_store_b32 v4, v3
.LBB0_196:                              ;   in Loop: Header=BB0_194 Depth=2
	s_or_b32 exec_lo, exec_lo, s22
	s_lshl_b32 s3, s3, 1
	s_cmp_gt_u32 s16, 3
	s_cbranch_scc0 .LBB0_198
; %bb.197:                              ;   in Loop: Header=BB0_194 Depth=2
	s_mov_b32 s16, s17
	s_branch .LBB0_194
.LBB0_198:                              ;   in Loop: Header=BB0_3 Depth=1
	s_cmp_lt_i32 s3, s15
	s_cselect_b32 s16, -1, 0
	s_delay_alu instid0(SALU_CYCLE_1) | instskip(NEXT) | instid1(VALU_DEP_1)
	v_cndmask_b32_e64 v3, 0, 1, s16
	v_readfirstlane_b32 s16, v3
	s_lshl_b32 s17, s3, s16
	s_delay_alu instid0(SALU_CYCLE_1) | instskip(NEXT) | instid1(SALU_CYCLE_1)
	s_ashr_i32 s3, s17, 1
	s_cmp_lt_i32 s3, 1
	s_cbranch_scc1 .LBB0_203
; %bb.199:                              ;   in Loop: Header=BB0_3 Depth=1
	s_mov_b32 s16, 0
	s_branch .LBB0_201
.LBB0_200:                              ;   in Loop: Header=BB0_201 Depth=2
	s_or_b32 exec_lo, exec_lo, s23
	s_lshl_b32 s16, s16, 1
	s_mov_b32 s17, s22
	s_or_b32 s16, s16, 2
	s_delay_alu instid0(SALU_CYCLE_1)
	s_cmp_lt_i32 s16, s3
	s_cbranch_scc0 .LBB0_203
.LBB0_201:                              ;   Parent Loop BB0_3 Depth=1
                                        ; =>  This Inner Loop Header: Depth=2
	s_ashr_i32 s22, s17, 1
	s_mov_b32 s23, exec_lo
	s_wait_storecnt_dscnt 0x0
	s_barrier_signal -1
	s_barrier_wait -1
	v_cmpx_ge_u32_e64 s16, v0
	s_cbranch_execz .LBB0_200
; %bb.202:                              ;   in Loop: Header=BB0_201 Depth=2
	v_mul_lo_u32 v3, s22, v35
	s_and_b32 s17, s17, -4
	s_delay_alu instid0(VALU_DEP_1) | instskip(NEXT) | instid1(VALU_DEP_1)
	v_lshlrev_b32_e32 v3, 2, v3
	v_add3_u32 v3, 0, v3, -4
	s_delay_alu instid0(VALU_DEP_1)
	v_add_nc_u32_e32 v4, s17, v3
	ds_load_b32 v3, v3
	ds_load_b32 v37, v4
	s_wait_dscnt 0x0
	v_add_nc_u32_e32 v3, v37, v3
	ds_store_b32 v4, v3
	s_branch .LBB0_200
.LBB0_203:                              ;   in Loop: Header=BB0_3 Depth=1
	v_mov_b32_e32 v4, s19
	s_wait_storecnt_dscnt 0x0
	s_barrier_signal -1
	s_barrier_wait -1
	ds_load_b32 v3, v1
	ds_load_b32 v4, v4
	s_wait_dscnt 0x0
	s_barrier_signal -1
	s_barrier_wait -1
	s_and_saveexec_b32 s3, s1
	s_cbranch_execz .LBB0_205
; %bb.204:                              ;   in Loop: Header=BB0_3 Depth=1
	v_mov_b32_e32 v37, s19
	ds_load_b32 v38, v1
	ds_load_b32 v39, v37
	s_wait_dscnt 0x0
	v_add_nc_u32_e32 v38, v39, v38
	ds_store_b32 v37, v38
.LBB0_205:                              ;   in Loop: Header=BB0_3 Depth=1
	s_or_b32 exec_lo, exec_lo, s3
	s_delay_alu instid0(SALU_CYCLE_1)
	s_mov_b32 s3, exec_lo
	v_cmpx_ne_u32_e64 s5, v5
	s_cbranch_execz .LBB0_207
; %bb.206:                              ;   in Loop: Header=BB0_3 Depth=1
	v_sub_nc_u32_e32 v2, v3, v2
	s_delay_alu instid0(VALU_DEP_1)
	v_add_nc_u32_e32 v2, v2, v4
	global_store_b32 v2, v5, s[8:9] scale_offset
.LBB0_207:                              ;   in Loop: Header=BB0_3 Depth=1
	s_wait_xcnt 0x0
	s_or_b32 exec_lo, exec_lo, s3
	v_cmp_ne_u32_e32 vcc_lo, s5, v6
	s_mov_b32 s3, 1
	v_cndmask_b32_e64 v2, 0, 1, vcc_lo
	s_and_not1_b32 vcc_lo, exec_lo, s20
	ds_store_b32 v1, v2
	s_cbranch_vccnz .LBB0_213
; %bb.208:                              ;   in Loop: Header=BB0_3 Depth=1
	s_mov_b32 s16, s15
.LBB0_209:                              ;   Parent Loop BB0_3 Depth=1
                                        ; =>  This Inner Loop Header: Depth=2
	s_delay_alu instid0(SALU_CYCLE_1)
	s_lshr_b32 s17, s16, 1
	s_mov_b32 s22, exec_lo
	s_wait_storecnt_dscnt 0x0
	s_barrier_signal -1
	s_barrier_wait -1
	v_cmpx_gt_u32_e64 s17, v0
	s_cbranch_execz .LBB0_211
; %bb.210:                              ;   in Loop: Header=BB0_209 Depth=2
	v_mul_lo_u32 v3, s3, v34
	s_delay_alu instid0(VALU_DEP_1) | instskip(NEXT) | instid1(VALU_DEP_1)
	v_lshlrev_b32_e32 v3, 2, v3
	v_add3_u32 v3, 0, v3, -4
	s_delay_alu instid0(VALU_DEP_1)
	v_lshl_add_u32 v4, s3, 2, v3
	ds_load_b32 v3, v3
	ds_load_b32 v5, v4
	s_wait_dscnt 0x0
	v_add_nc_u32_e32 v3, v5, v3
	ds_store_b32 v4, v3
.LBB0_211:                              ;   in Loop: Header=BB0_209 Depth=2
	s_or_b32 exec_lo, exec_lo, s22
	s_lshl_b32 s3, s3, 1
	s_cmp_gt_u32 s16, 3
	s_cbranch_scc0 .LBB0_213
; %bb.212:                              ;   in Loop: Header=BB0_209 Depth=2
	s_mov_b32 s16, s17
	s_branch .LBB0_209
.LBB0_213:                              ;   in Loop: Header=BB0_3 Depth=1
	s_cmp_lt_i32 s3, s15
	s_cselect_b32 s16, -1, 0
	s_delay_alu instid0(SALU_CYCLE_1) | instskip(NEXT) | instid1(VALU_DEP_1)
	v_cndmask_b32_e64 v3, 0, 1, s16
	v_readfirstlane_b32 s16, v3
	s_lshl_b32 s17, s3, s16
	s_delay_alu instid0(SALU_CYCLE_1) | instskip(NEXT) | instid1(SALU_CYCLE_1)
	s_ashr_i32 s3, s17, 1
	s_cmp_lt_i32 s3, 1
	s_cbranch_scc1 .LBB0_218
; %bb.214:                              ;   in Loop: Header=BB0_3 Depth=1
	s_mov_b32 s16, 0
	s_branch .LBB0_216
.LBB0_215:                              ;   in Loop: Header=BB0_216 Depth=2
	s_or_b32 exec_lo, exec_lo, s23
	s_lshl_b32 s16, s16, 1
	s_mov_b32 s17, s22
	s_or_b32 s16, s16, 2
	s_delay_alu instid0(SALU_CYCLE_1)
	s_cmp_lt_i32 s16, s3
	s_cbranch_scc0 .LBB0_218
.LBB0_216:                              ;   Parent Loop BB0_3 Depth=1
                                        ; =>  This Inner Loop Header: Depth=2
	s_ashr_i32 s22, s17, 1
	s_mov_b32 s23, exec_lo
	s_wait_storecnt_dscnt 0x0
	s_barrier_signal -1
	s_barrier_wait -1
	v_cmpx_ge_u32_e64 s16, v0
	s_cbranch_execz .LBB0_215
; %bb.217:                              ;   in Loop: Header=BB0_216 Depth=2
	v_mul_lo_u32 v3, s22, v35
	s_and_b32 s17, s17, -4
	s_delay_alu instid0(VALU_DEP_1) | instskip(NEXT) | instid1(VALU_DEP_1)
	v_lshlrev_b32_e32 v3, 2, v3
	v_add3_u32 v3, 0, v3, -4
	s_delay_alu instid0(VALU_DEP_1)
	v_add_nc_u32_e32 v4, s17, v3
	ds_load_b32 v3, v3
	ds_load_b32 v5, v4
	s_wait_dscnt 0x0
	v_add_nc_u32_e32 v3, v5, v3
	ds_store_b32 v4, v3
	s_branch .LBB0_215
.LBB0_218:                              ;   in Loop: Header=BB0_3 Depth=1
	v_mov_b32_e32 v4, s19
	s_wait_storecnt_dscnt 0x0
	s_barrier_signal -1
	s_barrier_wait -1
	ds_load_b32 v3, v1
	ds_load_b32 v4, v4
	s_wait_dscnt 0x0
	s_barrier_signal -1
	s_barrier_wait -1
	s_and_saveexec_b32 s3, s1
	s_cbranch_execz .LBB0_220
; %bb.219:                              ;   in Loop: Header=BB0_3 Depth=1
	v_mov_b32_e32 v5, s19
	ds_load_b32 v37, v1
	ds_load_b32 v38, v5
	s_wait_dscnt 0x0
	v_add_nc_u32_e32 v37, v38, v37
	ds_store_b32 v5, v37
.LBB0_220:                              ;   in Loop: Header=BB0_3 Depth=1
	s_or_b32 exec_lo, exec_lo, s3
	s_delay_alu instid0(SALU_CYCLE_1)
	s_mov_b32 s3, exec_lo
	v_cmpx_ne_u32_e64 s5, v6
	s_cbranch_execz .LBB0_222
; %bb.221:                              ;   in Loop: Header=BB0_3 Depth=1
	v_sub_nc_u32_e32 v2, v3, v2
	s_delay_alu instid0(VALU_DEP_1)
	v_add_nc_u32_e32 v2, v2, v4
	global_store_b32 v2, v6, s[8:9] scale_offset
.LBB0_222:                              ;   in Loop: Header=BB0_3 Depth=1
	s_wait_xcnt 0x0
	s_or_b32 exec_lo, exec_lo, s3
	v_cmp_ne_u32_e32 vcc_lo, s5, v7
	s_mov_b32 s3, 1
	v_cndmask_b32_e64 v2, 0, 1, vcc_lo
	s_and_not1_b32 vcc_lo, exec_lo, s20
	ds_store_b32 v1, v2
	s_cbranch_vccnz .LBB0_228
; %bb.223:                              ;   in Loop: Header=BB0_3 Depth=1
	s_mov_b32 s16, s15
.LBB0_224:                              ;   Parent Loop BB0_3 Depth=1
                                        ; =>  This Inner Loop Header: Depth=2
	s_delay_alu instid0(SALU_CYCLE_1)
	s_lshr_b32 s17, s16, 1
	s_mov_b32 s22, exec_lo
	s_wait_storecnt_dscnt 0x0
	s_barrier_signal -1
	s_barrier_wait -1
	v_cmpx_gt_u32_e64 s17, v0
	s_cbranch_execz .LBB0_226
; %bb.225:                              ;   in Loop: Header=BB0_224 Depth=2
	v_mul_lo_u32 v3, s3, v34
	s_delay_alu instid0(VALU_DEP_1) | instskip(NEXT) | instid1(VALU_DEP_1)
	v_lshlrev_b32_e32 v3, 2, v3
	v_add3_u32 v3, 0, v3, -4
	s_delay_alu instid0(VALU_DEP_1)
	v_lshl_add_u32 v4, s3, 2, v3
	ds_load_b32 v3, v3
	ds_load_b32 v5, v4
	s_wait_dscnt 0x0
	v_add_nc_u32_e32 v3, v5, v3
	ds_store_b32 v4, v3
.LBB0_226:                              ;   in Loop: Header=BB0_224 Depth=2
	s_or_b32 exec_lo, exec_lo, s22
	s_lshl_b32 s3, s3, 1
	s_cmp_gt_u32 s16, 3
	s_cbranch_scc0 .LBB0_228
; %bb.227:                              ;   in Loop: Header=BB0_224 Depth=2
	s_mov_b32 s16, s17
	s_branch .LBB0_224
.LBB0_228:                              ;   in Loop: Header=BB0_3 Depth=1
	s_cmp_lt_i32 s3, s15
	s_cselect_b32 s16, -1, 0
	s_delay_alu instid0(SALU_CYCLE_1) | instskip(NEXT) | instid1(VALU_DEP_1)
	v_cndmask_b32_e64 v3, 0, 1, s16
	v_readfirstlane_b32 s16, v3
	s_lshl_b32 s17, s3, s16
	s_delay_alu instid0(SALU_CYCLE_1) | instskip(NEXT) | instid1(SALU_CYCLE_1)
	s_ashr_i32 s3, s17, 1
	s_cmp_lt_i32 s3, 1
	s_cbranch_scc1 .LBB0_233
; %bb.229:                              ;   in Loop: Header=BB0_3 Depth=1
	s_mov_b32 s16, 0
	s_branch .LBB0_231
.LBB0_230:                              ;   in Loop: Header=BB0_231 Depth=2
	s_or_b32 exec_lo, exec_lo, s23
	s_lshl_b32 s16, s16, 1
	s_mov_b32 s17, s22
	s_or_b32 s16, s16, 2
	s_delay_alu instid0(SALU_CYCLE_1)
	s_cmp_lt_i32 s16, s3
	s_cbranch_scc0 .LBB0_233
.LBB0_231:                              ;   Parent Loop BB0_3 Depth=1
                                        ; =>  This Inner Loop Header: Depth=2
	s_ashr_i32 s22, s17, 1
	s_mov_b32 s23, exec_lo
	s_wait_storecnt_dscnt 0x0
	s_barrier_signal -1
	s_barrier_wait -1
	v_cmpx_ge_u32_e64 s16, v0
	s_cbranch_execz .LBB0_230
; %bb.232:                              ;   in Loop: Header=BB0_231 Depth=2
	v_mul_lo_u32 v3, s22, v35
	s_and_b32 s17, s17, -4
	s_delay_alu instid0(VALU_DEP_1) | instskip(NEXT) | instid1(VALU_DEP_1)
	v_lshlrev_b32_e32 v3, 2, v3
	v_add3_u32 v3, 0, v3, -4
	s_delay_alu instid0(VALU_DEP_1)
	v_add_nc_u32_e32 v4, s17, v3
	ds_load_b32 v3, v3
	ds_load_b32 v5, v4
	s_wait_dscnt 0x0
	v_add_nc_u32_e32 v3, v5, v3
	ds_store_b32 v4, v3
	s_branch .LBB0_230
.LBB0_233:                              ;   in Loop: Header=BB0_3 Depth=1
	v_mov_b32_e32 v4, s19
	s_wait_storecnt_dscnt 0x0
	s_barrier_signal -1
	s_barrier_wait -1
	ds_load_b32 v3, v1
	ds_load_b32 v4, v4
	s_wait_dscnt 0x0
	s_barrier_signal -1
	s_barrier_wait -1
	s_and_saveexec_b32 s3, s1
	s_cbranch_execz .LBB0_235
; %bb.234:                              ;   in Loop: Header=BB0_3 Depth=1
	v_mov_b32_e32 v5, s19
	ds_load_b32 v6, v1
	ds_load_b32 v37, v5
	s_wait_dscnt 0x0
	v_add_nc_u32_e32 v6, v37, v6
	ds_store_b32 v5, v6
.LBB0_235:                              ;   in Loop: Header=BB0_3 Depth=1
	s_or_b32 exec_lo, exec_lo, s3
	s_delay_alu instid0(SALU_CYCLE_1)
	s_mov_b32 s3, exec_lo
	v_cmpx_ne_u32_e64 s5, v7
	s_cbranch_execz .LBB0_237
; %bb.236:                              ;   in Loop: Header=BB0_3 Depth=1
	v_sub_nc_u32_e32 v2, v3, v2
	s_delay_alu instid0(VALU_DEP_1)
	v_add_nc_u32_e32 v2, v2, v4
	global_store_b32 v2, v7, s[8:9] scale_offset
.LBB0_237:                              ;   in Loop: Header=BB0_3 Depth=1
	s_wait_xcnt 0x0
	s_or_b32 exec_lo, exec_lo, s3
	v_cmp_ne_u32_e32 vcc_lo, s5, v8
	s_mov_b32 s3, 1
	v_cndmask_b32_e64 v2, 0, 1, vcc_lo
	s_and_not1_b32 vcc_lo, exec_lo, s20
	ds_store_b32 v1, v2
	s_cbranch_vccnz .LBB0_243
; %bb.238:                              ;   in Loop: Header=BB0_3 Depth=1
	s_mov_b32 s16, s15
.LBB0_239:                              ;   Parent Loop BB0_3 Depth=1
                                        ; =>  This Inner Loop Header: Depth=2
	s_delay_alu instid0(SALU_CYCLE_1)
	s_lshr_b32 s17, s16, 1
	s_mov_b32 s22, exec_lo
	s_wait_storecnt_dscnt 0x0
	s_barrier_signal -1
	s_barrier_wait -1
	v_cmpx_gt_u32_e64 s17, v0
	s_cbranch_execz .LBB0_241
; %bb.240:                              ;   in Loop: Header=BB0_239 Depth=2
	v_mul_lo_u32 v3, s3, v34
	s_delay_alu instid0(VALU_DEP_1) | instskip(NEXT) | instid1(VALU_DEP_1)
	v_lshlrev_b32_e32 v3, 2, v3
	v_add3_u32 v3, 0, v3, -4
	s_delay_alu instid0(VALU_DEP_1)
	v_lshl_add_u32 v4, s3, 2, v3
	ds_load_b32 v3, v3
	ds_load_b32 v5, v4
	s_wait_dscnt 0x0
	v_add_nc_u32_e32 v3, v5, v3
	ds_store_b32 v4, v3
.LBB0_241:                              ;   in Loop: Header=BB0_239 Depth=2
	s_or_b32 exec_lo, exec_lo, s22
	s_lshl_b32 s3, s3, 1
	s_cmp_gt_u32 s16, 3
	s_cbranch_scc0 .LBB0_243
; %bb.242:                              ;   in Loop: Header=BB0_239 Depth=2
	s_mov_b32 s16, s17
	s_branch .LBB0_239
.LBB0_243:                              ;   in Loop: Header=BB0_3 Depth=1
	s_cmp_lt_i32 s3, s15
	s_cselect_b32 s16, -1, 0
	s_delay_alu instid0(SALU_CYCLE_1) | instskip(NEXT) | instid1(VALU_DEP_1)
	v_cndmask_b32_e64 v3, 0, 1, s16
	v_readfirstlane_b32 s16, v3
	s_lshl_b32 s17, s3, s16
	s_delay_alu instid0(SALU_CYCLE_1) | instskip(NEXT) | instid1(SALU_CYCLE_1)
	s_ashr_i32 s3, s17, 1
	s_cmp_lt_i32 s3, 1
	s_cbranch_scc1 .LBB0_248
; %bb.244:                              ;   in Loop: Header=BB0_3 Depth=1
	s_mov_b32 s16, 0
	s_branch .LBB0_246
.LBB0_245:                              ;   in Loop: Header=BB0_246 Depth=2
	s_or_b32 exec_lo, exec_lo, s23
	s_lshl_b32 s16, s16, 1
	s_mov_b32 s17, s22
	s_or_b32 s16, s16, 2
	s_delay_alu instid0(SALU_CYCLE_1)
	s_cmp_lt_i32 s16, s3
	s_cbranch_scc0 .LBB0_248
.LBB0_246:                              ;   Parent Loop BB0_3 Depth=1
                                        ; =>  This Inner Loop Header: Depth=2
	s_ashr_i32 s22, s17, 1
	s_mov_b32 s23, exec_lo
	s_wait_storecnt_dscnt 0x0
	s_barrier_signal -1
	s_barrier_wait -1
	v_cmpx_ge_u32_e64 s16, v0
	s_cbranch_execz .LBB0_245
; %bb.247:                              ;   in Loop: Header=BB0_246 Depth=2
	v_mul_lo_u32 v3, s22, v35
	s_and_b32 s17, s17, -4
	s_delay_alu instid0(VALU_DEP_1) | instskip(NEXT) | instid1(VALU_DEP_1)
	v_lshlrev_b32_e32 v3, 2, v3
	v_add3_u32 v3, 0, v3, -4
	s_delay_alu instid0(VALU_DEP_1)
	v_add_nc_u32_e32 v4, s17, v3
	ds_load_b32 v3, v3
	ds_load_b32 v5, v4
	s_wait_dscnt 0x0
	v_add_nc_u32_e32 v3, v5, v3
	ds_store_b32 v4, v3
	s_branch .LBB0_245
.LBB0_248:                              ;   in Loop: Header=BB0_3 Depth=1
	v_mov_b32_e32 v4, s19
	s_wait_storecnt_dscnt 0x0
	s_barrier_signal -1
	s_barrier_wait -1
	ds_load_b32 v3, v1
	ds_load_b32 v4, v4
	s_wait_dscnt 0x0
	s_barrier_signal -1
	s_barrier_wait -1
	s_and_saveexec_b32 s3, s1
	s_cbranch_execz .LBB0_250
; %bb.249:                              ;   in Loop: Header=BB0_3 Depth=1
	v_mov_b32_e32 v5, s19
	ds_load_b32 v6, v1
	ds_load_b32 v7, v5
	s_wait_dscnt 0x0
	v_add_nc_u32_e32 v6, v7, v6
	ds_store_b32 v5, v6
.LBB0_250:                              ;   in Loop: Header=BB0_3 Depth=1
	s_or_b32 exec_lo, exec_lo, s3
	s_delay_alu instid0(SALU_CYCLE_1)
	s_mov_b32 s3, exec_lo
	v_cmpx_ne_u32_e64 s5, v8
	s_cbranch_execz .LBB0_252
; %bb.251:                              ;   in Loop: Header=BB0_3 Depth=1
	v_sub_nc_u32_e32 v2, v3, v2
	s_delay_alu instid0(VALU_DEP_1)
	v_add_nc_u32_e32 v2, v2, v4
	global_store_b32 v2, v8, s[8:9] scale_offset
.LBB0_252:                              ;   in Loop: Header=BB0_3 Depth=1
	s_wait_xcnt 0x0
	s_or_b32 exec_lo, exec_lo, s3
	v_cmp_ne_u32_e32 vcc_lo, s5, v9
	s_mov_b32 s3, 1
	v_cndmask_b32_e64 v2, 0, 1, vcc_lo
	s_and_not1_b32 vcc_lo, exec_lo, s20
	ds_store_b32 v1, v2
	s_cbranch_vccnz .LBB0_258
; %bb.253:                              ;   in Loop: Header=BB0_3 Depth=1
	s_mov_b32 s16, s15
.LBB0_254:                              ;   Parent Loop BB0_3 Depth=1
                                        ; =>  This Inner Loop Header: Depth=2
	s_delay_alu instid0(SALU_CYCLE_1)
	s_lshr_b32 s17, s16, 1
	s_mov_b32 s22, exec_lo
	s_wait_storecnt_dscnt 0x0
	s_barrier_signal -1
	s_barrier_wait -1
	v_cmpx_gt_u32_e64 s17, v0
	s_cbranch_execz .LBB0_256
; %bb.255:                              ;   in Loop: Header=BB0_254 Depth=2
	v_mul_lo_u32 v3, s3, v34
	s_delay_alu instid0(VALU_DEP_1) | instskip(NEXT) | instid1(VALU_DEP_1)
	v_lshlrev_b32_e32 v3, 2, v3
	v_add3_u32 v3, 0, v3, -4
	s_delay_alu instid0(VALU_DEP_1)
	v_lshl_add_u32 v4, s3, 2, v3
	ds_load_b32 v3, v3
	ds_load_b32 v5, v4
	s_wait_dscnt 0x0
	v_add_nc_u32_e32 v3, v5, v3
	ds_store_b32 v4, v3
.LBB0_256:                              ;   in Loop: Header=BB0_254 Depth=2
	s_or_b32 exec_lo, exec_lo, s22
	s_lshl_b32 s3, s3, 1
	s_cmp_gt_u32 s16, 3
	s_cbranch_scc0 .LBB0_258
; %bb.257:                              ;   in Loop: Header=BB0_254 Depth=2
	s_mov_b32 s16, s17
	s_branch .LBB0_254
.LBB0_258:                              ;   in Loop: Header=BB0_3 Depth=1
	s_cmp_lt_i32 s3, s15
	s_cselect_b32 s16, -1, 0
	s_delay_alu instid0(SALU_CYCLE_1) | instskip(NEXT) | instid1(VALU_DEP_1)
	v_cndmask_b32_e64 v3, 0, 1, s16
	v_readfirstlane_b32 s16, v3
	s_lshl_b32 s17, s3, s16
	s_delay_alu instid0(SALU_CYCLE_1) | instskip(NEXT) | instid1(SALU_CYCLE_1)
	s_ashr_i32 s3, s17, 1
	s_cmp_lt_i32 s3, 1
	s_cbranch_scc1 .LBB0_263
; %bb.259:                              ;   in Loop: Header=BB0_3 Depth=1
	s_mov_b32 s16, 0
	s_branch .LBB0_261
.LBB0_260:                              ;   in Loop: Header=BB0_261 Depth=2
	s_or_b32 exec_lo, exec_lo, s23
	s_lshl_b32 s16, s16, 1
	s_mov_b32 s17, s22
	s_or_b32 s16, s16, 2
	s_delay_alu instid0(SALU_CYCLE_1)
	s_cmp_lt_i32 s16, s3
	s_cbranch_scc0 .LBB0_263
.LBB0_261:                              ;   Parent Loop BB0_3 Depth=1
                                        ; =>  This Inner Loop Header: Depth=2
	s_ashr_i32 s22, s17, 1
	s_mov_b32 s23, exec_lo
	s_wait_storecnt_dscnt 0x0
	s_barrier_signal -1
	s_barrier_wait -1
	v_cmpx_ge_u32_e64 s16, v0
	s_cbranch_execz .LBB0_260
; %bb.262:                              ;   in Loop: Header=BB0_261 Depth=2
	v_mul_lo_u32 v3, s22, v35
	s_and_b32 s17, s17, -4
	s_delay_alu instid0(VALU_DEP_1) | instskip(NEXT) | instid1(VALU_DEP_1)
	v_lshlrev_b32_e32 v3, 2, v3
	v_add3_u32 v3, 0, v3, -4
	s_delay_alu instid0(VALU_DEP_1)
	v_add_nc_u32_e32 v4, s17, v3
	ds_load_b32 v3, v3
	ds_load_b32 v5, v4
	s_wait_dscnt 0x0
	v_add_nc_u32_e32 v3, v5, v3
	ds_store_b32 v4, v3
	s_branch .LBB0_260
.LBB0_263:                              ;   in Loop: Header=BB0_3 Depth=1
	v_mov_b32_e32 v4, s19
	s_wait_storecnt_dscnt 0x0
	s_barrier_signal -1
	s_barrier_wait -1
	ds_load_b32 v3, v1
	ds_load_b32 v4, v4
	s_wait_dscnt 0x0
	s_barrier_signal -1
	s_barrier_wait -1
	s_and_saveexec_b32 s3, s1
	s_cbranch_execz .LBB0_265
; %bb.264:                              ;   in Loop: Header=BB0_3 Depth=1
	v_mov_b32_e32 v5, s19
	ds_load_b32 v6, v1
	ds_load_b32 v7, v5
	s_wait_dscnt 0x0
	v_add_nc_u32_e32 v6, v7, v6
	ds_store_b32 v5, v6
.LBB0_265:                              ;   in Loop: Header=BB0_3 Depth=1
	s_or_b32 exec_lo, exec_lo, s3
	s_delay_alu instid0(SALU_CYCLE_1)
	s_mov_b32 s3, exec_lo
	v_cmpx_ne_u32_e64 s5, v9
	s_cbranch_execz .LBB0_267
; %bb.266:                              ;   in Loop: Header=BB0_3 Depth=1
	v_sub_nc_u32_e32 v2, v3, v2
	s_delay_alu instid0(VALU_DEP_1)
	v_add_nc_u32_e32 v2, v2, v4
	global_store_b32 v2, v9, s[8:9] scale_offset
.LBB0_267:                              ;   in Loop: Header=BB0_3 Depth=1
	s_wait_xcnt 0x0
	s_or_b32 exec_lo, exec_lo, s3
	v_cmp_ne_u32_e32 vcc_lo, s5, v10
	s_mov_b32 s3, 1
	v_cndmask_b32_e64 v2, 0, 1, vcc_lo
	s_and_not1_b32 vcc_lo, exec_lo, s20
	ds_store_b32 v1, v2
	s_cbranch_vccnz .LBB0_273
; %bb.268:                              ;   in Loop: Header=BB0_3 Depth=1
	s_mov_b32 s16, s15
.LBB0_269:                              ;   Parent Loop BB0_3 Depth=1
                                        ; =>  This Inner Loop Header: Depth=2
	s_delay_alu instid0(SALU_CYCLE_1)
	s_lshr_b32 s17, s16, 1
	s_mov_b32 s22, exec_lo
	s_wait_storecnt_dscnt 0x0
	s_barrier_signal -1
	s_barrier_wait -1
	v_cmpx_gt_u32_e64 s17, v0
	s_cbranch_execz .LBB0_271
; %bb.270:                              ;   in Loop: Header=BB0_269 Depth=2
	v_mul_lo_u32 v3, s3, v34
	s_delay_alu instid0(VALU_DEP_1) | instskip(NEXT) | instid1(VALU_DEP_1)
	v_lshlrev_b32_e32 v3, 2, v3
	v_add3_u32 v3, 0, v3, -4
	s_delay_alu instid0(VALU_DEP_1)
	v_lshl_add_u32 v4, s3, 2, v3
	ds_load_b32 v3, v3
	ds_load_b32 v5, v4
	s_wait_dscnt 0x0
	v_add_nc_u32_e32 v3, v5, v3
	ds_store_b32 v4, v3
.LBB0_271:                              ;   in Loop: Header=BB0_269 Depth=2
	s_or_b32 exec_lo, exec_lo, s22
	s_lshl_b32 s3, s3, 1
	s_cmp_gt_u32 s16, 3
	s_cbranch_scc0 .LBB0_273
; %bb.272:                              ;   in Loop: Header=BB0_269 Depth=2
	s_mov_b32 s16, s17
	s_branch .LBB0_269
.LBB0_273:                              ;   in Loop: Header=BB0_3 Depth=1
	s_cmp_lt_i32 s3, s15
	s_cselect_b32 s16, -1, 0
	s_delay_alu instid0(SALU_CYCLE_1) | instskip(NEXT) | instid1(VALU_DEP_1)
	v_cndmask_b32_e64 v3, 0, 1, s16
	v_readfirstlane_b32 s16, v3
	s_lshl_b32 s17, s3, s16
	s_delay_alu instid0(SALU_CYCLE_1) | instskip(NEXT) | instid1(SALU_CYCLE_1)
	s_ashr_i32 s3, s17, 1
	s_cmp_lt_i32 s3, 1
	s_cbranch_scc1 .LBB0_278
; %bb.274:                              ;   in Loop: Header=BB0_3 Depth=1
	s_mov_b32 s16, 0
	s_branch .LBB0_276
.LBB0_275:                              ;   in Loop: Header=BB0_276 Depth=2
	s_or_b32 exec_lo, exec_lo, s23
	s_lshl_b32 s16, s16, 1
	s_mov_b32 s17, s22
	s_or_b32 s16, s16, 2
	s_delay_alu instid0(SALU_CYCLE_1)
	s_cmp_lt_i32 s16, s3
	s_cbranch_scc0 .LBB0_278
.LBB0_276:                              ;   Parent Loop BB0_3 Depth=1
                                        ; =>  This Inner Loop Header: Depth=2
	s_ashr_i32 s22, s17, 1
	s_mov_b32 s23, exec_lo
	s_wait_storecnt_dscnt 0x0
	s_barrier_signal -1
	s_barrier_wait -1
	v_cmpx_ge_u32_e64 s16, v0
	s_cbranch_execz .LBB0_275
; %bb.277:                              ;   in Loop: Header=BB0_276 Depth=2
	v_mul_lo_u32 v3, s22, v35
	s_and_b32 s17, s17, -4
	s_delay_alu instid0(VALU_DEP_1) | instskip(NEXT) | instid1(VALU_DEP_1)
	v_lshlrev_b32_e32 v3, 2, v3
	v_add3_u32 v3, 0, v3, -4
	s_delay_alu instid0(VALU_DEP_1)
	v_add_nc_u32_e32 v4, s17, v3
	ds_load_b32 v3, v3
	ds_load_b32 v5, v4
	s_wait_dscnt 0x0
	v_add_nc_u32_e32 v3, v5, v3
	ds_store_b32 v4, v3
	s_branch .LBB0_275
.LBB0_278:                              ;   in Loop: Header=BB0_3 Depth=1
	v_mov_b32_e32 v4, s19
	s_wait_storecnt_dscnt 0x0
	s_barrier_signal -1
	s_barrier_wait -1
	ds_load_b32 v3, v1
	ds_load_b32 v4, v4
	s_wait_dscnt 0x0
	s_barrier_signal -1
	s_barrier_wait -1
	s_and_saveexec_b32 s3, s1
	s_cbranch_execz .LBB0_280
; %bb.279:                              ;   in Loop: Header=BB0_3 Depth=1
	v_mov_b32_e32 v5, s19
	ds_load_b32 v6, v1
	ds_load_b32 v7, v5
	s_wait_dscnt 0x0
	v_add_nc_u32_e32 v6, v7, v6
	ds_store_b32 v5, v6
.LBB0_280:                              ;   in Loop: Header=BB0_3 Depth=1
	s_or_b32 exec_lo, exec_lo, s3
	s_delay_alu instid0(SALU_CYCLE_1)
	s_mov_b32 s3, exec_lo
	v_cmpx_ne_u32_e64 s5, v10
	s_cbranch_execz .LBB0_282
; %bb.281:                              ;   in Loop: Header=BB0_3 Depth=1
	v_sub_nc_u32_e32 v2, v3, v2
	s_delay_alu instid0(VALU_DEP_1)
	v_add_nc_u32_e32 v2, v2, v4
	global_store_b32 v2, v10, s[8:9] scale_offset
.LBB0_282:                              ;   in Loop: Header=BB0_3 Depth=1
	s_wait_xcnt 0x0
	s_or_b32 exec_lo, exec_lo, s3
	v_cmp_ne_u32_e32 vcc_lo, s5, v11
	s_mov_b32 s3, 1
	v_cndmask_b32_e64 v2, 0, 1, vcc_lo
	s_and_not1_b32 vcc_lo, exec_lo, s20
	ds_store_b32 v1, v2
	s_cbranch_vccnz .LBB0_288
; %bb.283:                              ;   in Loop: Header=BB0_3 Depth=1
	s_mov_b32 s16, s15
.LBB0_284:                              ;   Parent Loop BB0_3 Depth=1
                                        ; =>  This Inner Loop Header: Depth=2
	s_delay_alu instid0(SALU_CYCLE_1)
	s_lshr_b32 s17, s16, 1
	s_mov_b32 s22, exec_lo
	s_wait_storecnt_dscnt 0x0
	s_barrier_signal -1
	s_barrier_wait -1
	v_cmpx_gt_u32_e64 s17, v0
	s_cbranch_execz .LBB0_286
; %bb.285:                              ;   in Loop: Header=BB0_284 Depth=2
	v_mul_lo_u32 v3, s3, v34
	s_delay_alu instid0(VALU_DEP_1) | instskip(NEXT) | instid1(VALU_DEP_1)
	v_lshlrev_b32_e32 v3, 2, v3
	v_add3_u32 v3, 0, v3, -4
	s_delay_alu instid0(VALU_DEP_1)
	v_lshl_add_u32 v4, s3, 2, v3
	ds_load_b32 v3, v3
	ds_load_b32 v5, v4
	s_wait_dscnt 0x0
	v_add_nc_u32_e32 v3, v5, v3
	ds_store_b32 v4, v3
.LBB0_286:                              ;   in Loop: Header=BB0_284 Depth=2
	s_or_b32 exec_lo, exec_lo, s22
	s_lshl_b32 s3, s3, 1
	s_cmp_gt_u32 s16, 3
	s_cbranch_scc0 .LBB0_288
; %bb.287:                              ;   in Loop: Header=BB0_284 Depth=2
	s_mov_b32 s16, s17
	s_branch .LBB0_284
.LBB0_288:                              ;   in Loop: Header=BB0_3 Depth=1
	s_cmp_lt_i32 s3, s15
	s_cselect_b32 s16, -1, 0
	s_delay_alu instid0(SALU_CYCLE_1) | instskip(NEXT) | instid1(VALU_DEP_1)
	v_cndmask_b32_e64 v3, 0, 1, s16
	v_readfirstlane_b32 s16, v3
	s_lshl_b32 s17, s3, s16
	s_delay_alu instid0(SALU_CYCLE_1) | instskip(NEXT) | instid1(SALU_CYCLE_1)
	s_ashr_i32 s3, s17, 1
	s_cmp_lt_i32 s3, 1
	s_cbranch_scc1 .LBB0_293
; %bb.289:                              ;   in Loop: Header=BB0_3 Depth=1
	s_mov_b32 s16, 0
	s_branch .LBB0_291
.LBB0_290:                              ;   in Loop: Header=BB0_291 Depth=2
	s_or_b32 exec_lo, exec_lo, s23
	s_lshl_b32 s16, s16, 1
	s_mov_b32 s17, s22
	s_or_b32 s16, s16, 2
	s_delay_alu instid0(SALU_CYCLE_1)
	s_cmp_lt_i32 s16, s3
	s_cbranch_scc0 .LBB0_293
.LBB0_291:                              ;   Parent Loop BB0_3 Depth=1
                                        ; =>  This Inner Loop Header: Depth=2
	s_ashr_i32 s22, s17, 1
	s_mov_b32 s23, exec_lo
	s_wait_storecnt_dscnt 0x0
	s_barrier_signal -1
	s_barrier_wait -1
	v_cmpx_ge_u32_e64 s16, v0
	s_cbranch_execz .LBB0_290
; %bb.292:                              ;   in Loop: Header=BB0_291 Depth=2
	v_mul_lo_u32 v3, s22, v35
	s_and_b32 s17, s17, -4
	s_delay_alu instid0(VALU_DEP_1) | instskip(NEXT) | instid1(VALU_DEP_1)
	v_lshlrev_b32_e32 v3, 2, v3
	v_add3_u32 v3, 0, v3, -4
	s_delay_alu instid0(VALU_DEP_1)
	v_add_nc_u32_e32 v4, s17, v3
	ds_load_b32 v3, v3
	ds_load_b32 v5, v4
	s_wait_dscnt 0x0
	v_add_nc_u32_e32 v3, v5, v3
	ds_store_b32 v4, v3
	s_branch .LBB0_290
.LBB0_293:                              ;   in Loop: Header=BB0_3 Depth=1
	v_mov_b32_e32 v4, s19
	s_wait_storecnt_dscnt 0x0
	s_barrier_signal -1
	s_barrier_wait -1
	ds_load_b32 v3, v1
	ds_load_b32 v4, v4
	s_wait_dscnt 0x0
	s_barrier_signal -1
	s_barrier_wait -1
	s_and_saveexec_b32 s3, s1
	s_cbranch_execz .LBB0_295
; %bb.294:                              ;   in Loop: Header=BB0_3 Depth=1
	v_mov_b32_e32 v5, s19
	ds_load_b32 v6, v1
	ds_load_b32 v7, v5
	s_wait_dscnt 0x0
	v_add_nc_u32_e32 v6, v7, v6
	ds_store_b32 v5, v6
.LBB0_295:                              ;   in Loop: Header=BB0_3 Depth=1
	s_or_b32 exec_lo, exec_lo, s3
	s_delay_alu instid0(SALU_CYCLE_1)
	s_mov_b32 s3, exec_lo
	v_cmpx_ne_u32_e64 s5, v11
	s_cbranch_execz .LBB0_297
; %bb.296:                              ;   in Loop: Header=BB0_3 Depth=1
	v_sub_nc_u32_e32 v2, v3, v2
	s_delay_alu instid0(VALU_DEP_1)
	v_add_nc_u32_e32 v2, v2, v4
	global_store_b32 v2, v11, s[8:9] scale_offset
.LBB0_297:                              ;   in Loop: Header=BB0_3 Depth=1
	s_wait_xcnt 0x0
	s_or_b32 exec_lo, exec_lo, s3
	v_cmp_ne_u32_e32 vcc_lo, s5, v12
	s_mov_b32 s3, 1
	v_cndmask_b32_e64 v2, 0, 1, vcc_lo
	s_and_not1_b32 vcc_lo, exec_lo, s20
	ds_store_b32 v1, v2
	s_cbranch_vccnz .LBB0_303
; %bb.298:                              ;   in Loop: Header=BB0_3 Depth=1
	s_mov_b32 s16, s15
.LBB0_299:                              ;   Parent Loop BB0_3 Depth=1
                                        ; =>  This Inner Loop Header: Depth=2
	s_delay_alu instid0(SALU_CYCLE_1)
	s_lshr_b32 s17, s16, 1
	s_mov_b32 s22, exec_lo
	s_wait_storecnt_dscnt 0x0
	s_barrier_signal -1
	s_barrier_wait -1
	v_cmpx_gt_u32_e64 s17, v0
	s_cbranch_execz .LBB0_301
; %bb.300:                              ;   in Loop: Header=BB0_299 Depth=2
	v_mul_lo_u32 v3, s3, v34
	s_delay_alu instid0(VALU_DEP_1) | instskip(NEXT) | instid1(VALU_DEP_1)
	v_lshlrev_b32_e32 v3, 2, v3
	v_add3_u32 v3, 0, v3, -4
	s_delay_alu instid0(VALU_DEP_1)
	v_lshl_add_u32 v4, s3, 2, v3
	ds_load_b32 v3, v3
	ds_load_b32 v5, v4
	s_wait_dscnt 0x0
	v_add_nc_u32_e32 v3, v5, v3
	ds_store_b32 v4, v3
.LBB0_301:                              ;   in Loop: Header=BB0_299 Depth=2
	s_or_b32 exec_lo, exec_lo, s22
	s_lshl_b32 s3, s3, 1
	s_cmp_gt_u32 s16, 3
	s_cbranch_scc0 .LBB0_303
; %bb.302:                              ;   in Loop: Header=BB0_299 Depth=2
	s_mov_b32 s16, s17
	s_branch .LBB0_299
.LBB0_303:                              ;   in Loop: Header=BB0_3 Depth=1
	s_cmp_lt_i32 s3, s15
	s_cselect_b32 s16, -1, 0
	s_delay_alu instid0(SALU_CYCLE_1) | instskip(NEXT) | instid1(VALU_DEP_1)
	v_cndmask_b32_e64 v3, 0, 1, s16
	v_readfirstlane_b32 s16, v3
	s_lshl_b32 s17, s3, s16
	s_delay_alu instid0(SALU_CYCLE_1) | instskip(NEXT) | instid1(SALU_CYCLE_1)
	s_ashr_i32 s3, s17, 1
	s_cmp_lt_i32 s3, 1
	s_cbranch_scc1 .LBB0_308
; %bb.304:                              ;   in Loop: Header=BB0_3 Depth=1
	s_mov_b32 s16, 0
	s_branch .LBB0_306
.LBB0_305:                              ;   in Loop: Header=BB0_306 Depth=2
	s_or_b32 exec_lo, exec_lo, s23
	s_lshl_b32 s16, s16, 1
	s_mov_b32 s17, s22
	s_or_b32 s16, s16, 2
	s_delay_alu instid0(SALU_CYCLE_1)
	s_cmp_lt_i32 s16, s3
	s_cbranch_scc0 .LBB0_308
.LBB0_306:                              ;   Parent Loop BB0_3 Depth=1
                                        ; =>  This Inner Loop Header: Depth=2
	s_ashr_i32 s22, s17, 1
	s_mov_b32 s23, exec_lo
	s_wait_storecnt_dscnt 0x0
	s_barrier_signal -1
	s_barrier_wait -1
	v_cmpx_ge_u32_e64 s16, v0
	s_cbranch_execz .LBB0_305
; %bb.307:                              ;   in Loop: Header=BB0_306 Depth=2
	v_mul_lo_u32 v3, s22, v35
	s_and_b32 s17, s17, -4
	s_delay_alu instid0(VALU_DEP_1) | instskip(NEXT) | instid1(VALU_DEP_1)
	v_lshlrev_b32_e32 v3, 2, v3
	v_add3_u32 v3, 0, v3, -4
	s_delay_alu instid0(VALU_DEP_1)
	v_add_nc_u32_e32 v4, s17, v3
	ds_load_b32 v3, v3
	ds_load_b32 v5, v4
	s_wait_dscnt 0x0
	v_add_nc_u32_e32 v3, v5, v3
	ds_store_b32 v4, v3
	s_branch .LBB0_305
.LBB0_308:                              ;   in Loop: Header=BB0_3 Depth=1
	v_mov_b32_e32 v4, s19
	s_wait_storecnt_dscnt 0x0
	s_barrier_signal -1
	s_barrier_wait -1
	ds_load_b32 v3, v1
	ds_load_b32 v4, v4
	s_wait_dscnt 0x0
	s_barrier_signal -1
	s_barrier_wait -1
	s_and_saveexec_b32 s3, s1
	s_cbranch_execz .LBB0_310
; %bb.309:                              ;   in Loop: Header=BB0_3 Depth=1
	v_mov_b32_e32 v5, s19
	ds_load_b32 v6, v1
	ds_load_b32 v7, v5
	s_wait_dscnt 0x0
	v_add_nc_u32_e32 v6, v7, v6
	ds_store_b32 v5, v6
.LBB0_310:                              ;   in Loop: Header=BB0_3 Depth=1
	s_or_b32 exec_lo, exec_lo, s3
	s_delay_alu instid0(SALU_CYCLE_1)
	s_mov_b32 s3, exec_lo
	v_cmpx_ne_u32_e64 s5, v12
	s_cbranch_execz .LBB0_312
; %bb.311:                              ;   in Loop: Header=BB0_3 Depth=1
	v_sub_nc_u32_e32 v2, v3, v2
	s_delay_alu instid0(VALU_DEP_1)
	v_add_nc_u32_e32 v2, v2, v4
	global_store_b32 v2, v12, s[8:9] scale_offset
.LBB0_312:                              ;   in Loop: Header=BB0_3 Depth=1
	s_wait_xcnt 0x0
	s_or_b32 exec_lo, exec_lo, s3
	v_cmp_ne_u32_e32 vcc_lo, s5, v13
	s_mov_b32 s3, 1
	v_cndmask_b32_e64 v2, 0, 1, vcc_lo
	s_and_not1_b32 vcc_lo, exec_lo, s20
	ds_store_b32 v1, v2
	s_cbranch_vccnz .LBB0_318
; %bb.313:                              ;   in Loop: Header=BB0_3 Depth=1
	s_mov_b32 s16, s15
.LBB0_314:                              ;   Parent Loop BB0_3 Depth=1
                                        ; =>  This Inner Loop Header: Depth=2
	s_delay_alu instid0(SALU_CYCLE_1)
	s_lshr_b32 s17, s16, 1
	s_mov_b32 s22, exec_lo
	s_wait_storecnt_dscnt 0x0
	s_barrier_signal -1
	s_barrier_wait -1
	v_cmpx_gt_u32_e64 s17, v0
	s_cbranch_execz .LBB0_316
; %bb.315:                              ;   in Loop: Header=BB0_314 Depth=2
	v_mul_lo_u32 v3, s3, v34
	s_delay_alu instid0(VALU_DEP_1) | instskip(NEXT) | instid1(VALU_DEP_1)
	v_lshlrev_b32_e32 v3, 2, v3
	v_add3_u32 v3, 0, v3, -4
	s_delay_alu instid0(VALU_DEP_1)
	v_lshl_add_u32 v4, s3, 2, v3
	ds_load_b32 v3, v3
	ds_load_b32 v5, v4
	s_wait_dscnt 0x0
	v_add_nc_u32_e32 v3, v5, v3
	ds_store_b32 v4, v3
.LBB0_316:                              ;   in Loop: Header=BB0_314 Depth=2
	s_or_b32 exec_lo, exec_lo, s22
	s_lshl_b32 s3, s3, 1
	s_cmp_gt_u32 s16, 3
	s_cbranch_scc0 .LBB0_318
; %bb.317:                              ;   in Loop: Header=BB0_314 Depth=2
	s_mov_b32 s16, s17
	s_branch .LBB0_314
.LBB0_318:                              ;   in Loop: Header=BB0_3 Depth=1
	s_cmp_lt_i32 s3, s15
	s_cselect_b32 s16, -1, 0
	s_delay_alu instid0(SALU_CYCLE_1) | instskip(NEXT) | instid1(VALU_DEP_1)
	v_cndmask_b32_e64 v3, 0, 1, s16
	v_readfirstlane_b32 s16, v3
	s_lshl_b32 s17, s3, s16
	s_delay_alu instid0(SALU_CYCLE_1) | instskip(NEXT) | instid1(SALU_CYCLE_1)
	s_ashr_i32 s3, s17, 1
	s_cmp_lt_i32 s3, 1
	s_cbranch_scc1 .LBB0_323
; %bb.319:                              ;   in Loop: Header=BB0_3 Depth=1
	s_mov_b32 s16, 0
	s_branch .LBB0_321
.LBB0_320:                              ;   in Loop: Header=BB0_321 Depth=2
	s_or_b32 exec_lo, exec_lo, s23
	s_lshl_b32 s16, s16, 1
	s_mov_b32 s17, s22
	s_or_b32 s16, s16, 2
	s_delay_alu instid0(SALU_CYCLE_1)
	s_cmp_lt_i32 s16, s3
	s_cbranch_scc0 .LBB0_323
.LBB0_321:                              ;   Parent Loop BB0_3 Depth=1
                                        ; =>  This Inner Loop Header: Depth=2
	s_ashr_i32 s22, s17, 1
	s_mov_b32 s23, exec_lo
	s_wait_storecnt_dscnt 0x0
	s_barrier_signal -1
	s_barrier_wait -1
	v_cmpx_ge_u32_e64 s16, v0
	s_cbranch_execz .LBB0_320
; %bb.322:                              ;   in Loop: Header=BB0_321 Depth=2
	v_mul_lo_u32 v3, s22, v35
	s_and_b32 s17, s17, -4
	s_delay_alu instid0(VALU_DEP_1) | instskip(NEXT) | instid1(VALU_DEP_1)
	v_lshlrev_b32_e32 v3, 2, v3
	v_add3_u32 v3, 0, v3, -4
	s_delay_alu instid0(VALU_DEP_1)
	v_add_nc_u32_e32 v4, s17, v3
	ds_load_b32 v3, v3
	ds_load_b32 v5, v4
	s_wait_dscnt 0x0
	v_add_nc_u32_e32 v3, v5, v3
	ds_store_b32 v4, v3
	s_branch .LBB0_320
.LBB0_323:                              ;   in Loop: Header=BB0_3 Depth=1
	v_mov_b32_e32 v4, s19
	s_wait_storecnt_dscnt 0x0
	s_barrier_signal -1
	s_barrier_wait -1
	ds_load_b32 v3, v1
	ds_load_b32 v4, v4
	s_wait_dscnt 0x0
	s_barrier_signal -1
	s_barrier_wait -1
	s_and_saveexec_b32 s3, s1
	s_cbranch_execz .LBB0_325
; %bb.324:                              ;   in Loop: Header=BB0_3 Depth=1
	v_mov_b32_e32 v5, s19
	ds_load_b32 v6, v1
	ds_load_b32 v7, v5
	s_wait_dscnt 0x0
	v_add_nc_u32_e32 v6, v7, v6
	ds_store_b32 v5, v6
.LBB0_325:                              ;   in Loop: Header=BB0_3 Depth=1
	s_or_b32 exec_lo, exec_lo, s3
	s_delay_alu instid0(SALU_CYCLE_1)
	s_mov_b32 s3, exec_lo
	v_cmpx_ne_u32_e64 s5, v13
	s_cbranch_execz .LBB0_327
; %bb.326:                              ;   in Loop: Header=BB0_3 Depth=1
	v_sub_nc_u32_e32 v2, v3, v2
	s_delay_alu instid0(VALU_DEP_1)
	v_add_nc_u32_e32 v2, v2, v4
	global_store_b32 v2, v13, s[8:9] scale_offset
.LBB0_327:                              ;   in Loop: Header=BB0_3 Depth=1
	s_wait_xcnt 0x0
	s_or_b32 exec_lo, exec_lo, s3
	v_cmp_ne_u32_e32 vcc_lo, s5, v14
	s_mov_b32 s3, 1
	v_cndmask_b32_e64 v2, 0, 1, vcc_lo
	s_and_not1_b32 vcc_lo, exec_lo, s20
	ds_store_b32 v1, v2
	s_cbranch_vccnz .LBB0_333
; %bb.328:                              ;   in Loop: Header=BB0_3 Depth=1
	s_mov_b32 s16, s15
.LBB0_329:                              ;   Parent Loop BB0_3 Depth=1
                                        ; =>  This Inner Loop Header: Depth=2
	s_delay_alu instid0(SALU_CYCLE_1)
	s_lshr_b32 s17, s16, 1
	s_mov_b32 s22, exec_lo
	s_wait_storecnt_dscnt 0x0
	s_barrier_signal -1
	s_barrier_wait -1
	v_cmpx_gt_u32_e64 s17, v0
	s_cbranch_execz .LBB0_331
; %bb.330:                              ;   in Loop: Header=BB0_329 Depth=2
	v_mul_lo_u32 v3, s3, v34
	s_delay_alu instid0(VALU_DEP_1) | instskip(NEXT) | instid1(VALU_DEP_1)
	v_lshlrev_b32_e32 v3, 2, v3
	v_add3_u32 v3, 0, v3, -4
	s_delay_alu instid0(VALU_DEP_1)
	v_lshl_add_u32 v4, s3, 2, v3
	ds_load_b32 v3, v3
	ds_load_b32 v5, v4
	s_wait_dscnt 0x0
	v_add_nc_u32_e32 v3, v5, v3
	ds_store_b32 v4, v3
.LBB0_331:                              ;   in Loop: Header=BB0_329 Depth=2
	s_or_b32 exec_lo, exec_lo, s22
	s_lshl_b32 s3, s3, 1
	s_cmp_gt_u32 s16, 3
	s_cbranch_scc0 .LBB0_333
; %bb.332:                              ;   in Loop: Header=BB0_329 Depth=2
	s_mov_b32 s16, s17
	s_branch .LBB0_329
.LBB0_333:                              ;   in Loop: Header=BB0_3 Depth=1
	s_cmp_lt_i32 s3, s15
	s_cselect_b32 s16, -1, 0
	s_delay_alu instid0(SALU_CYCLE_1) | instskip(NEXT) | instid1(VALU_DEP_1)
	v_cndmask_b32_e64 v3, 0, 1, s16
	v_readfirstlane_b32 s16, v3
	s_lshl_b32 s17, s3, s16
	s_delay_alu instid0(SALU_CYCLE_1) | instskip(NEXT) | instid1(SALU_CYCLE_1)
	s_ashr_i32 s3, s17, 1
	s_cmp_lt_i32 s3, 1
	s_cbranch_scc1 .LBB0_338
; %bb.334:                              ;   in Loop: Header=BB0_3 Depth=1
	s_mov_b32 s16, 0
	s_branch .LBB0_336
.LBB0_335:                              ;   in Loop: Header=BB0_336 Depth=2
	s_or_b32 exec_lo, exec_lo, s23
	s_lshl_b32 s16, s16, 1
	s_mov_b32 s17, s22
	s_or_b32 s16, s16, 2
	s_delay_alu instid0(SALU_CYCLE_1)
	s_cmp_lt_i32 s16, s3
	s_cbranch_scc0 .LBB0_338
.LBB0_336:                              ;   Parent Loop BB0_3 Depth=1
                                        ; =>  This Inner Loop Header: Depth=2
	s_ashr_i32 s22, s17, 1
	s_mov_b32 s23, exec_lo
	s_wait_storecnt_dscnt 0x0
	s_barrier_signal -1
	s_barrier_wait -1
	v_cmpx_ge_u32_e64 s16, v0
	s_cbranch_execz .LBB0_335
; %bb.337:                              ;   in Loop: Header=BB0_336 Depth=2
	v_mul_lo_u32 v3, s22, v35
	s_and_b32 s17, s17, -4
	s_delay_alu instid0(VALU_DEP_1) | instskip(NEXT) | instid1(VALU_DEP_1)
	v_lshlrev_b32_e32 v3, 2, v3
	v_add3_u32 v3, 0, v3, -4
	s_delay_alu instid0(VALU_DEP_1)
	v_add_nc_u32_e32 v4, s17, v3
	ds_load_b32 v3, v3
	ds_load_b32 v5, v4
	s_wait_dscnt 0x0
	v_add_nc_u32_e32 v3, v5, v3
	ds_store_b32 v4, v3
	s_branch .LBB0_335
.LBB0_338:                              ;   in Loop: Header=BB0_3 Depth=1
	v_mov_b32_e32 v4, s19
	s_wait_storecnt_dscnt 0x0
	s_barrier_signal -1
	s_barrier_wait -1
	ds_load_b32 v3, v1
	ds_load_b32 v4, v4
	s_wait_dscnt 0x0
	s_barrier_signal -1
	s_barrier_wait -1
	s_and_saveexec_b32 s3, s1
	s_cbranch_execz .LBB0_340
; %bb.339:                              ;   in Loop: Header=BB0_3 Depth=1
	v_mov_b32_e32 v5, s19
	ds_load_b32 v6, v1
	ds_load_b32 v7, v5
	s_wait_dscnt 0x0
	v_add_nc_u32_e32 v6, v7, v6
	ds_store_b32 v5, v6
.LBB0_340:                              ;   in Loop: Header=BB0_3 Depth=1
	s_or_b32 exec_lo, exec_lo, s3
	s_delay_alu instid0(SALU_CYCLE_1)
	s_mov_b32 s3, exec_lo
	v_cmpx_ne_u32_e64 s5, v14
	s_cbranch_execz .LBB0_342
; %bb.341:                              ;   in Loop: Header=BB0_3 Depth=1
	v_sub_nc_u32_e32 v2, v3, v2
	s_delay_alu instid0(VALU_DEP_1)
	v_add_nc_u32_e32 v2, v2, v4
	global_store_b32 v2, v14, s[8:9] scale_offset
.LBB0_342:                              ;   in Loop: Header=BB0_3 Depth=1
	s_wait_xcnt 0x0
	s_or_b32 exec_lo, exec_lo, s3
	v_cmp_ne_u32_e32 vcc_lo, s5, v15
	s_mov_b32 s3, 1
	v_cndmask_b32_e64 v2, 0, 1, vcc_lo
	s_and_not1_b32 vcc_lo, exec_lo, s20
	ds_store_b32 v1, v2
	s_cbranch_vccnz .LBB0_348
; %bb.343:                              ;   in Loop: Header=BB0_3 Depth=1
	s_mov_b32 s16, s15
.LBB0_344:                              ;   Parent Loop BB0_3 Depth=1
                                        ; =>  This Inner Loop Header: Depth=2
	s_delay_alu instid0(SALU_CYCLE_1)
	s_lshr_b32 s17, s16, 1
	s_mov_b32 s22, exec_lo
	s_wait_storecnt_dscnt 0x0
	s_barrier_signal -1
	s_barrier_wait -1
	v_cmpx_gt_u32_e64 s17, v0
	s_cbranch_execz .LBB0_346
; %bb.345:                              ;   in Loop: Header=BB0_344 Depth=2
	v_mul_lo_u32 v3, s3, v34
	s_delay_alu instid0(VALU_DEP_1) | instskip(NEXT) | instid1(VALU_DEP_1)
	v_lshlrev_b32_e32 v3, 2, v3
	v_add3_u32 v3, 0, v3, -4
	s_delay_alu instid0(VALU_DEP_1)
	v_lshl_add_u32 v4, s3, 2, v3
	ds_load_b32 v3, v3
	ds_load_b32 v5, v4
	s_wait_dscnt 0x0
	v_add_nc_u32_e32 v3, v5, v3
	ds_store_b32 v4, v3
.LBB0_346:                              ;   in Loop: Header=BB0_344 Depth=2
	s_or_b32 exec_lo, exec_lo, s22
	s_lshl_b32 s3, s3, 1
	s_cmp_gt_u32 s16, 3
	s_cbranch_scc0 .LBB0_348
; %bb.347:                              ;   in Loop: Header=BB0_344 Depth=2
	s_mov_b32 s16, s17
	s_branch .LBB0_344
.LBB0_348:                              ;   in Loop: Header=BB0_3 Depth=1
	s_cmp_lt_i32 s3, s15
	s_cselect_b32 s16, -1, 0
	s_delay_alu instid0(SALU_CYCLE_1) | instskip(NEXT) | instid1(VALU_DEP_1)
	v_cndmask_b32_e64 v3, 0, 1, s16
	v_readfirstlane_b32 s16, v3
	s_lshl_b32 s17, s3, s16
	s_delay_alu instid0(SALU_CYCLE_1) | instskip(NEXT) | instid1(SALU_CYCLE_1)
	s_ashr_i32 s3, s17, 1
	s_cmp_lt_i32 s3, 1
	s_cbranch_scc1 .LBB0_353
; %bb.349:                              ;   in Loop: Header=BB0_3 Depth=1
	s_mov_b32 s16, 0
	s_branch .LBB0_351
.LBB0_350:                              ;   in Loop: Header=BB0_351 Depth=2
	s_or_b32 exec_lo, exec_lo, s23
	s_lshl_b32 s16, s16, 1
	s_mov_b32 s17, s22
	s_or_b32 s16, s16, 2
	s_delay_alu instid0(SALU_CYCLE_1)
	s_cmp_lt_i32 s16, s3
	s_cbranch_scc0 .LBB0_353
.LBB0_351:                              ;   Parent Loop BB0_3 Depth=1
                                        ; =>  This Inner Loop Header: Depth=2
	s_ashr_i32 s22, s17, 1
	s_mov_b32 s23, exec_lo
	s_wait_storecnt_dscnt 0x0
	s_barrier_signal -1
	s_barrier_wait -1
	v_cmpx_ge_u32_e64 s16, v0
	s_cbranch_execz .LBB0_350
; %bb.352:                              ;   in Loop: Header=BB0_351 Depth=2
	v_mul_lo_u32 v3, s22, v35
	s_and_b32 s17, s17, -4
	s_delay_alu instid0(VALU_DEP_1) | instskip(NEXT) | instid1(VALU_DEP_1)
	v_lshlrev_b32_e32 v3, 2, v3
	v_add3_u32 v3, 0, v3, -4
	s_delay_alu instid0(VALU_DEP_1)
	v_add_nc_u32_e32 v4, s17, v3
	ds_load_b32 v3, v3
	ds_load_b32 v5, v4
	s_wait_dscnt 0x0
	v_add_nc_u32_e32 v3, v5, v3
	ds_store_b32 v4, v3
	s_branch .LBB0_350
.LBB0_353:                              ;   in Loop: Header=BB0_3 Depth=1
	v_mov_b32_e32 v4, s19
	s_wait_storecnt_dscnt 0x0
	s_barrier_signal -1
	s_barrier_wait -1
	ds_load_b32 v3, v1
	ds_load_b32 v4, v4
	s_wait_dscnt 0x0
	s_barrier_signal -1
	s_barrier_wait -1
	s_and_saveexec_b32 s3, s1
	s_cbranch_execz .LBB0_355
; %bb.354:                              ;   in Loop: Header=BB0_3 Depth=1
	v_mov_b32_e32 v5, s19
	ds_load_b32 v6, v1
	ds_load_b32 v7, v5
	s_wait_dscnt 0x0
	v_add_nc_u32_e32 v6, v7, v6
	ds_store_b32 v5, v6
.LBB0_355:                              ;   in Loop: Header=BB0_3 Depth=1
	s_or_b32 exec_lo, exec_lo, s3
	s_delay_alu instid0(SALU_CYCLE_1)
	s_mov_b32 s3, exec_lo
	v_cmpx_ne_u32_e64 s5, v15
	s_cbranch_execz .LBB0_357
; %bb.356:                              ;   in Loop: Header=BB0_3 Depth=1
	v_sub_nc_u32_e32 v2, v3, v2
	s_delay_alu instid0(VALU_DEP_1)
	v_add_nc_u32_e32 v2, v2, v4
	global_store_b32 v2, v15, s[8:9] scale_offset
.LBB0_357:                              ;   in Loop: Header=BB0_3 Depth=1
	s_wait_xcnt 0x0
	s_or_b32 exec_lo, exec_lo, s3
	v_cmp_ne_u32_e32 vcc_lo, s5, v16
	s_mov_b32 s3, 1
	v_cndmask_b32_e64 v2, 0, 1, vcc_lo
	s_and_not1_b32 vcc_lo, exec_lo, s20
	ds_store_b32 v1, v2
	s_cbranch_vccnz .LBB0_363
; %bb.358:                              ;   in Loop: Header=BB0_3 Depth=1
	s_mov_b32 s16, s15
.LBB0_359:                              ;   Parent Loop BB0_3 Depth=1
                                        ; =>  This Inner Loop Header: Depth=2
	s_delay_alu instid0(SALU_CYCLE_1)
	s_lshr_b32 s17, s16, 1
	s_mov_b32 s22, exec_lo
	s_wait_storecnt_dscnt 0x0
	s_barrier_signal -1
	s_barrier_wait -1
	v_cmpx_gt_u32_e64 s17, v0
	s_cbranch_execz .LBB0_361
; %bb.360:                              ;   in Loop: Header=BB0_359 Depth=2
	v_mul_lo_u32 v3, s3, v34
	s_delay_alu instid0(VALU_DEP_1) | instskip(NEXT) | instid1(VALU_DEP_1)
	v_lshlrev_b32_e32 v3, 2, v3
	v_add3_u32 v3, 0, v3, -4
	s_delay_alu instid0(VALU_DEP_1)
	v_lshl_add_u32 v4, s3, 2, v3
	ds_load_b32 v3, v3
	ds_load_b32 v5, v4
	s_wait_dscnt 0x0
	v_add_nc_u32_e32 v3, v5, v3
	ds_store_b32 v4, v3
.LBB0_361:                              ;   in Loop: Header=BB0_359 Depth=2
	s_or_b32 exec_lo, exec_lo, s22
	s_lshl_b32 s3, s3, 1
	s_cmp_gt_u32 s16, 3
	s_cbranch_scc0 .LBB0_363
; %bb.362:                              ;   in Loop: Header=BB0_359 Depth=2
	s_mov_b32 s16, s17
	s_branch .LBB0_359
.LBB0_363:                              ;   in Loop: Header=BB0_3 Depth=1
	s_cmp_lt_i32 s3, s15
	s_cselect_b32 s16, -1, 0
	s_delay_alu instid0(SALU_CYCLE_1) | instskip(NEXT) | instid1(VALU_DEP_1)
	v_cndmask_b32_e64 v3, 0, 1, s16
	v_readfirstlane_b32 s16, v3
	s_lshl_b32 s17, s3, s16
	s_delay_alu instid0(SALU_CYCLE_1) | instskip(NEXT) | instid1(SALU_CYCLE_1)
	s_ashr_i32 s3, s17, 1
	s_cmp_lt_i32 s3, 1
	s_cbranch_scc1 .LBB0_368
; %bb.364:                              ;   in Loop: Header=BB0_3 Depth=1
	s_mov_b32 s16, 0
	s_branch .LBB0_366
.LBB0_365:                              ;   in Loop: Header=BB0_366 Depth=2
	s_or_b32 exec_lo, exec_lo, s23
	s_lshl_b32 s16, s16, 1
	s_mov_b32 s17, s22
	s_or_b32 s16, s16, 2
	s_delay_alu instid0(SALU_CYCLE_1)
	s_cmp_lt_i32 s16, s3
	s_cbranch_scc0 .LBB0_368
.LBB0_366:                              ;   Parent Loop BB0_3 Depth=1
                                        ; =>  This Inner Loop Header: Depth=2
	s_ashr_i32 s22, s17, 1
	s_mov_b32 s23, exec_lo
	s_wait_storecnt_dscnt 0x0
	s_barrier_signal -1
	s_barrier_wait -1
	v_cmpx_ge_u32_e64 s16, v0
	s_cbranch_execz .LBB0_365
; %bb.367:                              ;   in Loop: Header=BB0_366 Depth=2
	v_mul_lo_u32 v3, s22, v35
	s_and_b32 s17, s17, -4
	s_delay_alu instid0(VALU_DEP_1) | instskip(NEXT) | instid1(VALU_DEP_1)
	v_lshlrev_b32_e32 v3, 2, v3
	v_add3_u32 v3, 0, v3, -4
	s_delay_alu instid0(VALU_DEP_1)
	v_add_nc_u32_e32 v4, s17, v3
	ds_load_b32 v3, v3
	ds_load_b32 v5, v4
	s_wait_dscnt 0x0
	v_add_nc_u32_e32 v3, v5, v3
	ds_store_b32 v4, v3
	s_branch .LBB0_365
.LBB0_368:                              ;   in Loop: Header=BB0_3 Depth=1
	v_mov_b32_e32 v4, s19
	s_wait_storecnt_dscnt 0x0
	s_barrier_signal -1
	s_barrier_wait -1
	ds_load_b32 v3, v1
	ds_load_b32 v4, v4
	s_wait_dscnt 0x0
	s_barrier_signal -1
	s_barrier_wait -1
	s_and_saveexec_b32 s3, s1
	s_cbranch_execz .LBB0_370
; %bb.369:                              ;   in Loop: Header=BB0_3 Depth=1
	v_mov_b32_e32 v5, s19
	ds_load_b32 v6, v1
	ds_load_b32 v7, v5
	s_wait_dscnt 0x0
	v_add_nc_u32_e32 v6, v7, v6
	ds_store_b32 v5, v6
.LBB0_370:                              ;   in Loop: Header=BB0_3 Depth=1
	s_or_b32 exec_lo, exec_lo, s3
	s_delay_alu instid0(SALU_CYCLE_1)
	s_mov_b32 s3, exec_lo
	v_cmpx_ne_u32_e64 s5, v16
	s_cbranch_execz .LBB0_372
; %bb.371:                              ;   in Loop: Header=BB0_3 Depth=1
	v_sub_nc_u32_e32 v2, v3, v2
	s_delay_alu instid0(VALU_DEP_1)
	v_add_nc_u32_e32 v2, v2, v4
	global_store_b32 v2, v16, s[8:9] scale_offset
.LBB0_372:                              ;   in Loop: Header=BB0_3 Depth=1
	s_wait_xcnt 0x0
	s_or_b32 exec_lo, exec_lo, s3
	v_cmp_ne_u32_e32 vcc_lo, s5, v17
	s_mov_b32 s3, 1
	v_cndmask_b32_e64 v2, 0, 1, vcc_lo
	s_and_not1_b32 vcc_lo, exec_lo, s20
	ds_store_b32 v1, v2
	s_cbranch_vccnz .LBB0_378
; %bb.373:                              ;   in Loop: Header=BB0_3 Depth=1
	s_mov_b32 s16, s15
.LBB0_374:                              ;   Parent Loop BB0_3 Depth=1
                                        ; =>  This Inner Loop Header: Depth=2
	s_delay_alu instid0(SALU_CYCLE_1)
	s_lshr_b32 s17, s16, 1
	s_mov_b32 s22, exec_lo
	s_wait_storecnt_dscnt 0x0
	s_barrier_signal -1
	s_barrier_wait -1
	v_cmpx_gt_u32_e64 s17, v0
	s_cbranch_execz .LBB0_376
; %bb.375:                              ;   in Loop: Header=BB0_374 Depth=2
	v_mul_lo_u32 v3, s3, v34
	s_delay_alu instid0(VALU_DEP_1) | instskip(NEXT) | instid1(VALU_DEP_1)
	v_lshlrev_b32_e32 v3, 2, v3
	v_add3_u32 v3, 0, v3, -4
	s_delay_alu instid0(VALU_DEP_1)
	v_lshl_add_u32 v4, s3, 2, v3
	ds_load_b32 v3, v3
	ds_load_b32 v5, v4
	s_wait_dscnt 0x0
	v_add_nc_u32_e32 v3, v5, v3
	ds_store_b32 v4, v3
.LBB0_376:                              ;   in Loop: Header=BB0_374 Depth=2
	s_or_b32 exec_lo, exec_lo, s22
	s_lshl_b32 s3, s3, 1
	s_cmp_gt_u32 s16, 3
	s_cbranch_scc0 .LBB0_378
; %bb.377:                              ;   in Loop: Header=BB0_374 Depth=2
	s_mov_b32 s16, s17
	s_branch .LBB0_374
.LBB0_378:                              ;   in Loop: Header=BB0_3 Depth=1
	s_cmp_lt_i32 s3, s15
	s_cselect_b32 s16, -1, 0
	s_delay_alu instid0(SALU_CYCLE_1) | instskip(NEXT) | instid1(VALU_DEP_1)
	v_cndmask_b32_e64 v3, 0, 1, s16
	v_readfirstlane_b32 s16, v3
	s_lshl_b32 s17, s3, s16
	s_delay_alu instid0(SALU_CYCLE_1) | instskip(NEXT) | instid1(SALU_CYCLE_1)
	s_ashr_i32 s3, s17, 1
	s_cmp_lt_i32 s3, 1
	s_cbranch_scc1 .LBB0_383
; %bb.379:                              ;   in Loop: Header=BB0_3 Depth=1
	s_mov_b32 s16, 0
	s_branch .LBB0_381
.LBB0_380:                              ;   in Loop: Header=BB0_381 Depth=2
	s_or_b32 exec_lo, exec_lo, s23
	s_lshl_b32 s16, s16, 1
	s_mov_b32 s17, s22
	s_or_b32 s16, s16, 2
	s_delay_alu instid0(SALU_CYCLE_1)
	s_cmp_lt_i32 s16, s3
	s_cbranch_scc0 .LBB0_383
.LBB0_381:                              ;   Parent Loop BB0_3 Depth=1
                                        ; =>  This Inner Loop Header: Depth=2
	s_ashr_i32 s22, s17, 1
	s_mov_b32 s23, exec_lo
	s_wait_storecnt_dscnt 0x0
	s_barrier_signal -1
	s_barrier_wait -1
	v_cmpx_ge_u32_e64 s16, v0
	s_cbranch_execz .LBB0_380
; %bb.382:                              ;   in Loop: Header=BB0_381 Depth=2
	v_mul_lo_u32 v3, s22, v35
	s_and_b32 s17, s17, -4
	s_delay_alu instid0(VALU_DEP_1) | instskip(NEXT) | instid1(VALU_DEP_1)
	v_lshlrev_b32_e32 v3, 2, v3
	v_add3_u32 v3, 0, v3, -4
	s_delay_alu instid0(VALU_DEP_1)
	v_add_nc_u32_e32 v4, s17, v3
	ds_load_b32 v3, v3
	ds_load_b32 v5, v4
	s_wait_dscnt 0x0
	v_add_nc_u32_e32 v3, v5, v3
	ds_store_b32 v4, v3
	s_branch .LBB0_380
.LBB0_383:                              ;   in Loop: Header=BB0_3 Depth=1
	v_mov_b32_e32 v4, s19
	s_wait_storecnt_dscnt 0x0
	s_barrier_signal -1
	s_barrier_wait -1
	ds_load_b32 v3, v1
	ds_load_b32 v4, v4
	s_wait_dscnt 0x0
	s_barrier_signal -1
	s_barrier_wait -1
	s_and_saveexec_b32 s3, s1
	s_cbranch_execz .LBB0_385
; %bb.384:                              ;   in Loop: Header=BB0_3 Depth=1
	v_mov_b32_e32 v5, s19
	ds_load_b32 v6, v1
	ds_load_b32 v7, v5
	s_wait_dscnt 0x0
	v_add_nc_u32_e32 v6, v7, v6
	ds_store_b32 v5, v6
.LBB0_385:                              ;   in Loop: Header=BB0_3 Depth=1
	s_or_b32 exec_lo, exec_lo, s3
	s_delay_alu instid0(SALU_CYCLE_1)
	s_mov_b32 s3, exec_lo
	v_cmpx_ne_u32_e64 s5, v17
	s_cbranch_execz .LBB0_387
; %bb.386:                              ;   in Loop: Header=BB0_3 Depth=1
	v_sub_nc_u32_e32 v2, v3, v2
	s_delay_alu instid0(VALU_DEP_1)
	v_add_nc_u32_e32 v2, v2, v4
	global_store_b32 v2, v17, s[8:9] scale_offset
.LBB0_387:                              ;   in Loop: Header=BB0_3 Depth=1
	s_wait_xcnt 0x0
	s_or_b32 exec_lo, exec_lo, s3
	v_cmp_ne_u32_e32 vcc_lo, s5, v18
	s_mov_b32 s3, 1
	v_cndmask_b32_e64 v2, 0, 1, vcc_lo
	s_and_not1_b32 vcc_lo, exec_lo, s20
	ds_store_b32 v1, v2
	s_cbranch_vccnz .LBB0_393
; %bb.388:                              ;   in Loop: Header=BB0_3 Depth=1
	s_mov_b32 s16, s15
.LBB0_389:                              ;   Parent Loop BB0_3 Depth=1
                                        ; =>  This Inner Loop Header: Depth=2
	s_delay_alu instid0(SALU_CYCLE_1)
	s_lshr_b32 s17, s16, 1
	s_mov_b32 s22, exec_lo
	s_wait_storecnt_dscnt 0x0
	s_barrier_signal -1
	s_barrier_wait -1
	v_cmpx_gt_u32_e64 s17, v0
	s_cbranch_execz .LBB0_391
; %bb.390:                              ;   in Loop: Header=BB0_389 Depth=2
	v_mul_lo_u32 v3, s3, v34
	s_delay_alu instid0(VALU_DEP_1) | instskip(NEXT) | instid1(VALU_DEP_1)
	v_lshlrev_b32_e32 v3, 2, v3
	v_add3_u32 v3, 0, v3, -4
	s_delay_alu instid0(VALU_DEP_1)
	v_lshl_add_u32 v4, s3, 2, v3
	ds_load_b32 v3, v3
	ds_load_b32 v5, v4
	s_wait_dscnt 0x0
	v_add_nc_u32_e32 v3, v5, v3
	ds_store_b32 v4, v3
.LBB0_391:                              ;   in Loop: Header=BB0_389 Depth=2
	s_or_b32 exec_lo, exec_lo, s22
	s_lshl_b32 s3, s3, 1
	s_cmp_gt_u32 s16, 3
	s_cbranch_scc0 .LBB0_393
; %bb.392:                              ;   in Loop: Header=BB0_389 Depth=2
	s_mov_b32 s16, s17
	s_branch .LBB0_389
.LBB0_393:                              ;   in Loop: Header=BB0_3 Depth=1
	s_cmp_lt_i32 s3, s15
	s_cselect_b32 s16, -1, 0
	s_delay_alu instid0(SALU_CYCLE_1) | instskip(NEXT) | instid1(VALU_DEP_1)
	v_cndmask_b32_e64 v3, 0, 1, s16
	v_readfirstlane_b32 s16, v3
	s_lshl_b32 s17, s3, s16
	s_delay_alu instid0(SALU_CYCLE_1) | instskip(NEXT) | instid1(SALU_CYCLE_1)
	s_ashr_i32 s3, s17, 1
	s_cmp_lt_i32 s3, 1
	s_cbranch_scc1 .LBB0_398
; %bb.394:                              ;   in Loop: Header=BB0_3 Depth=1
	s_mov_b32 s16, 0
	s_branch .LBB0_396
.LBB0_395:                              ;   in Loop: Header=BB0_396 Depth=2
	s_or_b32 exec_lo, exec_lo, s23
	s_lshl_b32 s16, s16, 1
	s_mov_b32 s17, s22
	s_or_b32 s16, s16, 2
	s_delay_alu instid0(SALU_CYCLE_1)
	s_cmp_lt_i32 s16, s3
	s_cbranch_scc0 .LBB0_398
.LBB0_396:                              ;   Parent Loop BB0_3 Depth=1
                                        ; =>  This Inner Loop Header: Depth=2
	s_ashr_i32 s22, s17, 1
	s_mov_b32 s23, exec_lo
	s_wait_storecnt_dscnt 0x0
	s_barrier_signal -1
	s_barrier_wait -1
	v_cmpx_ge_u32_e64 s16, v0
	s_cbranch_execz .LBB0_395
; %bb.397:                              ;   in Loop: Header=BB0_396 Depth=2
	v_mul_lo_u32 v3, s22, v35
	s_and_b32 s17, s17, -4
	s_delay_alu instid0(VALU_DEP_1) | instskip(NEXT) | instid1(VALU_DEP_1)
	v_lshlrev_b32_e32 v3, 2, v3
	v_add3_u32 v3, 0, v3, -4
	s_delay_alu instid0(VALU_DEP_1)
	v_add_nc_u32_e32 v4, s17, v3
	ds_load_b32 v3, v3
	ds_load_b32 v5, v4
	s_wait_dscnt 0x0
	v_add_nc_u32_e32 v3, v5, v3
	ds_store_b32 v4, v3
	s_branch .LBB0_395
.LBB0_398:                              ;   in Loop: Header=BB0_3 Depth=1
	v_mov_b32_e32 v4, s19
	s_wait_storecnt_dscnt 0x0
	s_barrier_signal -1
	s_barrier_wait -1
	ds_load_b32 v3, v1
	ds_load_b32 v4, v4
	s_wait_dscnt 0x0
	s_barrier_signal -1
	s_barrier_wait -1
	s_and_saveexec_b32 s3, s1
	s_cbranch_execz .LBB0_400
; %bb.399:                              ;   in Loop: Header=BB0_3 Depth=1
	v_mov_b32_e32 v5, s19
	ds_load_b32 v6, v1
	ds_load_b32 v7, v5
	s_wait_dscnt 0x0
	v_add_nc_u32_e32 v6, v7, v6
	ds_store_b32 v5, v6
.LBB0_400:                              ;   in Loop: Header=BB0_3 Depth=1
	s_or_b32 exec_lo, exec_lo, s3
	s_delay_alu instid0(SALU_CYCLE_1)
	s_mov_b32 s3, exec_lo
	v_cmpx_ne_u32_e64 s5, v18
	s_cbranch_execz .LBB0_402
; %bb.401:                              ;   in Loop: Header=BB0_3 Depth=1
	v_sub_nc_u32_e32 v2, v3, v2
	s_delay_alu instid0(VALU_DEP_1)
	v_add_nc_u32_e32 v2, v2, v4
	global_store_b32 v2, v18, s[8:9] scale_offset
.LBB0_402:                              ;   in Loop: Header=BB0_3 Depth=1
	s_wait_xcnt 0x0
	s_or_b32 exec_lo, exec_lo, s3
	v_cmp_ne_u32_e32 vcc_lo, s5, v19
	s_mov_b32 s3, 1
	v_cndmask_b32_e64 v2, 0, 1, vcc_lo
	s_and_not1_b32 vcc_lo, exec_lo, s20
	ds_store_b32 v1, v2
	s_cbranch_vccnz .LBB0_408
; %bb.403:                              ;   in Loop: Header=BB0_3 Depth=1
	s_mov_b32 s16, s15
.LBB0_404:                              ;   Parent Loop BB0_3 Depth=1
                                        ; =>  This Inner Loop Header: Depth=2
	s_delay_alu instid0(SALU_CYCLE_1)
	s_lshr_b32 s17, s16, 1
	s_mov_b32 s22, exec_lo
	s_wait_storecnt_dscnt 0x0
	s_barrier_signal -1
	s_barrier_wait -1
	v_cmpx_gt_u32_e64 s17, v0
	s_cbranch_execz .LBB0_406
; %bb.405:                              ;   in Loop: Header=BB0_404 Depth=2
	v_mul_lo_u32 v3, s3, v34
	s_delay_alu instid0(VALU_DEP_1) | instskip(NEXT) | instid1(VALU_DEP_1)
	v_lshlrev_b32_e32 v3, 2, v3
	v_add3_u32 v3, 0, v3, -4
	s_delay_alu instid0(VALU_DEP_1)
	v_lshl_add_u32 v4, s3, 2, v3
	ds_load_b32 v3, v3
	ds_load_b32 v5, v4
	s_wait_dscnt 0x0
	v_add_nc_u32_e32 v3, v5, v3
	ds_store_b32 v4, v3
.LBB0_406:                              ;   in Loop: Header=BB0_404 Depth=2
	s_or_b32 exec_lo, exec_lo, s22
	s_lshl_b32 s3, s3, 1
	s_cmp_gt_u32 s16, 3
	s_cbranch_scc0 .LBB0_408
; %bb.407:                              ;   in Loop: Header=BB0_404 Depth=2
	s_mov_b32 s16, s17
	s_branch .LBB0_404
.LBB0_408:                              ;   in Loop: Header=BB0_3 Depth=1
	s_cmp_lt_i32 s3, s15
	s_cselect_b32 s16, -1, 0
	s_delay_alu instid0(SALU_CYCLE_1) | instskip(NEXT) | instid1(VALU_DEP_1)
	v_cndmask_b32_e64 v3, 0, 1, s16
	v_readfirstlane_b32 s16, v3
	s_lshl_b32 s17, s3, s16
	s_delay_alu instid0(SALU_CYCLE_1) | instskip(NEXT) | instid1(SALU_CYCLE_1)
	s_ashr_i32 s3, s17, 1
	s_cmp_lt_i32 s3, 1
	s_cbranch_scc1 .LBB0_413
; %bb.409:                              ;   in Loop: Header=BB0_3 Depth=1
	s_mov_b32 s16, 0
	s_branch .LBB0_411
.LBB0_410:                              ;   in Loop: Header=BB0_411 Depth=2
	s_or_b32 exec_lo, exec_lo, s23
	s_lshl_b32 s16, s16, 1
	s_mov_b32 s17, s22
	s_or_b32 s16, s16, 2
	s_delay_alu instid0(SALU_CYCLE_1)
	s_cmp_lt_i32 s16, s3
	s_cbranch_scc0 .LBB0_413
.LBB0_411:                              ;   Parent Loop BB0_3 Depth=1
                                        ; =>  This Inner Loop Header: Depth=2
	s_ashr_i32 s22, s17, 1
	s_mov_b32 s23, exec_lo
	s_wait_storecnt_dscnt 0x0
	s_barrier_signal -1
	s_barrier_wait -1
	v_cmpx_ge_u32_e64 s16, v0
	s_cbranch_execz .LBB0_410
; %bb.412:                              ;   in Loop: Header=BB0_411 Depth=2
	v_mul_lo_u32 v3, s22, v35
	s_and_b32 s17, s17, -4
	s_delay_alu instid0(VALU_DEP_1) | instskip(NEXT) | instid1(VALU_DEP_1)
	v_lshlrev_b32_e32 v3, 2, v3
	v_add3_u32 v3, 0, v3, -4
	s_delay_alu instid0(VALU_DEP_1)
	v_add_nc_u32_e32 v4, s17, v3
	ds_load_b32 v3, v3
	ds_load_b32 v5, v4
	s_wait_dscnt 0x0
	v_add_nc_u32_e32 v3, v5, v3
	ds_store_b32 v4, v3
	s_branch .LBB0_410
.LBB0_413:                              ;   in Loop: Header=BB0_3 Depth=1
	v_mov_b32_e32 v4, s19
	s_wait_storecnt_dscnt 0x0
	s_barrier_signal -1
	s_barrier_wait -1
	ds_load_b32 v3, v1
	ds_load_b32 v4, v4
	s_wait_dscnt 0x0
	s_barrier_signal -1
	s_barrier_wait -1
	s_and_saveexec_b32 s3, s1
	s_cbranch_execz .LBB0_415
; %bb.414:                              ;   in Loop: Header=BB0_3 Depth=1
	v_mov_b32_e32 v5, s19
	ds_load_b32 v6, v1
	ds_load_b32 v7, v5
	s_wait_dscnt 0x0
	v_add_nc_u32_e32 v6, v7, v6
	ds_store_b32 v5, v6
.LBB0_415:                              ;   in Loop: Header=BB0_3 Depth=1
	s_or_b32 exec_lo, exec_lo, s3
	s_delay_alu instid0(SALU_CYCLE_1)
	s_mov_b32 s3, exec_lo
	v_cmpx_ne_u32_e64 s5, v19
	s_cbranch_execz .LBB0_417
; %bb.416:                              ;   in Loop: Header=BB0_3 Depth=1
	v_sub_nc_u32_e32 v2, v3, v2
	s_delay_alu instid0(VALU_DEP_1)
	v_add_nc_u32_e32 v2, v2, v4
	global_store_b32 v2, v19, s[8:9] scale_offset
.LBB0_417:                              ;   in Loop: Header=BB0_3 Depth=1
	s_wait_xcnt 0x0
	s_or_b32 exec_lo, exec_lo, s3
	v_cmp_ne_u32_e32 vcc_lo, s5, v20
	s_mov_b32 s3, 1
	v_cndmask_b32_e64 v2, 0, 1, vcc_lo
	s_and_not1_b32 vcc_lo, exec_lo, s20
	ds_store_b32 v1, v2
	s_cbranch_vccnz .LBB0_423
; %bb.418:                              ;   in Loop: Header=BB0_3 Depth=1
	s_mov_b32 s16, s15
.LBB0_419:                              ;   Parent Loop BB0_3 Depth=1
                                        ; =>  This Inner Loop Header: Depth=2
	s_delay_alu instid0(SALU_CYCLE_1)
	s_lshr_b32 s17, s16, 1
	s_mov_b32 s22, exec_lo
	s_wait_storecnt_dscnt 0x0
	s_barrier_signal -1
	s_barrier_wait -1
	v_cmpx_gt_u32_e64 s17, v0
	s_cbranch_execz .LBB0_421
; %bb.420:                              ;   in Loop: Header=BB0_419 Depth=2
	v_mul_lo_u32 v3, s3, v34
	s_delay_alu instid0(VALU_DEP_1) | instskip(NEXT) | instid1(VALU_DEP_1)
	v_lshlrev_b32_e32 v3, 2, v3
	v_add3_u32 v3, 0, v3, -4
	s_delay_alu instid0(VALU_DEP_1)
	v_lshl_add_u32 v4, s3, 2, v3
	ds_load_b32 v3, v3
	ds_load_b32 v5, v4
	s_wait_dscnt 0x0
	v_add_nc_u32_e32 v3, v5, v3
	ds_store_b32 v4, v3
.LBB0_421:                              ;   in Loop: Header=BB0_419 Depth=2
	s_or_b32 exec_lo, exec_lo, s22
	s_lshl_b32 s3, s3, 1
	s_cmp_gt_u32 s16, 3
	s_cbranch_scc0 .LBB0_423
; %bb.422:                              ;   in Loop: Header=BB0_419 Depth=2
	s_mov_b32 s16, s17
	s_branch .LBB0_419
.LBB0_423:                              ;   in Loop: Header=BB0_3 Depth=1
	s_cmp_lt_i32 s3, s15
	s_cselect_b32 s16, -1, 0
	s_delay_alu instid0(SALU_CYCLE_1) | instskip(NEXT) | instid1(VALU_DEP_1)
	v_cndmask_b32_e64 v3, 0, 1, s16
	v_readfirstlane_b32 s16, v3
	s_lshl_b32 s17, s3, s16
	s_delay_alu instid0(SALU_CYCLE_1) | instskip(NEXT) | instid1(SALU_CYCLE_1)
	s_ashr_i32 s3, s17, 1
	s_cmp_lt_i32 s3, 1
	s_cbranch_scc1 .LBB0_428
; %bb.424:                              ;   in Loop: Header=BB0_3 Depth=1
	s_mov_b32 s16, 0
	s_branch .LBB0_426
.LBB0_425:                              ;   in Loop: Header=BB0_426 Depth=2
	s_or_b32 exec_lo, exec_lo, s23
	s_lshl_b32 s16, s16, 1
	s_mov_b32 s17, s22
	s_or_b32 s16, s16, 2
	s_delay_alu instid0(SALU_CYCLE_1)
	s_cmp_lt_i32 s16, s3
	s_cbranch_scc0 .LBB0_428
.LBB0_426:                              ;   Parent Loop BB0_3 Depth=1
                                        ; =>  This Inner Loop Header: Depth=2
	s_ashr_i32 s22, s17, 1
	s_mov_b32 s23, exec_lo
	s_wait_storecnt_dscnt 0x0
	s_barrier_signal -1
	s_barrier_wait -1
	v_cmpx_ge_u32_e64 s16, v0
	s_cbranch_execz .LBB0_425
; %bb.427:                              ;   in Loop: Header=BB0_426 Depth=2
	v_mul_lo_u32 v3, s22, v35
	s_and_b32 s17, s17, -4
	s_delay_alu instid0(VALU_DEP_1) | instskip(NEXT) | instid1(VALU_DEP_1)
	v_lshlrev_b32_e32 v3, 2, v3
	v_add3_u32 v3, 0, v3, -4
	s_delay_alu instid0(VALU_DEP_1)
	v_add_nc_u32_e32 v4, s17, v3
	ds_load_b32 v3, v3
	ds_load_b32 v5, v4
	s_wait_dscnt 0x0
	v_add_nc_u32_e32 v3, v5, v3
	ds_store_b32 v4, v3
	s_branch .LBB0_425
.LBB0_428:                              ;   in Loop: Header=BB0_3 Depth=1
	v_mov_b32_e32 v4, s19
	s_wait_storecnt_dscnt 0x0
	s_barrier_signal -1
	s_barrier_wait -1
	ds_load_b32 v3, v1
	ds_load_b32 v4, v4
	s_wait_dscnt 0x0
	s_barrier_signal -1
	s_barrier_wait -1
	s_and_saveexec_b32 s3, s1
	s_cbranch_execz .LBB0_430
; %bb.429:                              ;   in Loop: Header=BB0_3 Depth=1
	v_mov_b32_e32 v5, s19
	ds_load_b32 v6, v1
	ds_load_b32 v7, v5
	s_wait_dscnt 0x0
	v_add_nc_u32_e32 v6, v7, v6
	ds_store_b32 v5, v6
.LBB0_430:                              ;   in Loop: Header=BB0_3 Depth=1
	s_or_b32 exec_lo, exec_lo, s3
	s_delay_alu instid0(SALU_CYCLE_1)
	s_mov_b32 s3, exec_lo
	v_cmpx_ne_u32_e64 s5, v20
	s_cbranch_execz .LBB0_432
; %bb.431:                              ;   in Loop: Header=BB0_3 Depth=1
	v_sub_nc_u32_e32 v2, v3, v2
	s_delay_alu instid0(VALU_DEP_1)
	v_add_nc_u32_e32 v2, v2, v4
	global_store_b32 v2, v20, s[8:9] scale_offset
.LBB0_432:                              ;   in Loop: Header=BB0_3 Depth=1
	s_wait_xcnt 0x0
	s_or_b32 exec_lo, exec_lo, s3
	v_cmp_ne_u32_e32 vcc_lo, s5, v21
	s_mov_b32 s3, 1
	v_cndmask_b32_e64 v2, 0, 1, vcc_lo
	s_and_not1_b32 vcc_lo, exec_lo, s20
	ds_store_b32 v1, v2
	s_cbranch_vccnz .LBB0_438
; %bb.433:                              ;   in Loop: Header=BB0_3 Depth=1
	s_mov_b32 s16, s15
.LBB0_434:                              ;   Parent Loop BB0_3 Depth=1
                                        ; =>  This Inner Loop Header: Depth=2
	s_delay_alu instid0(SALU_CYCLE_1)
	s_lshr_b32 s17, s16, 1
	s_mov_b32 s22, exec_lo
	s_wait_storecnt_dscnt 0x0
	s_barrier_signal -1
	s_barrier_wait -1
	v_cmpx_gt_u32_e64 s17, v0
	s_cbranch_execz .LBB0_436
; %bb.435:                              ;   in Loop: Header=BB0_434 Depth=2
	v_mul_lo_u32 v3, s3, v34
	s_delay_alu instid0(VALU_DEP_1) | instskip(NEXT) | instid1(VALU_DEP_1)
	v_lshlrev_b32_e32 v3, 2, v3
	v_add3_u32 v3, 0, v3, -4
	s_delay_alu instid0(VALU_DEP_1)
	v_lshl_add_u32 v4, s3, 2, v3
	ds_load_b32 v3, v3
	ds_load_b32 v5, v4
	s_wait_dscnt 0x0
	v_add_nc_u32_e32 v3, v5, v3
	ds_store_b32 v4, v3
.LBB0_436:                              ;   in Loop: Header=BB0_434 Depth=2
	s_or_b32 exec_lo, exec_lo, s22
	s_lshl_b32 s3, s3, 1
	s_cmp_gt_u32 s16, 3
	s_cbranch_scc0 .LBB0_438
; %bb.437:                              ;   in Loop: Header=BB0_434 Depth=2
	s_mov_b32 s16, s17
	s_branch .LBB0_434
.LBB0_438:                              ;   in Loop: Header=BB0_3 Depth=1
	s_cmp_lt_i32 s3, s15
	s_cselect_b32 s16, -1, 0
	s_delay_alu instid0(SALU_CYCLE_1) | instskip(NEXT) | instid1(VALU_DEP_1)
	v_cndmask_b32_e64 v3, 0, 1, s16
	v_readfirstlane_b32 s16, v3
	s_lshl_b32 s17, s3, s16
	s_delay_alu instid0(SALU_CYCLE_1) | instskip(NEXT) | instid1(SALU_CYCLE_1)
	s_ashr_i32 s3, s17, 1
	s_cmp_lt_i32 s3, 1
	s_cbranch_scc1 .LBB0_443
; %bb.439:                              ;   in Loop: Header=BB0_3 Depth=1
	s_mov_b32 s16, 0
	s_branch .LBB0_441
.LBB0_440:                              ;   in Loop: Header=BB0_441 Depth=2
	s_or_b32 exec_lo, exec_lo, s23
	s_lshl_b32 s16, s16, 1
	s_mov_b32 s17, s22
	s_or_b32 s16, s16, 2
	s_delay_alu instid0(SALU_CYCLE_1)
	s_cmp_lt_i32 s16, s3
	s_cbranch_scc0 .LBB0_443
.LBB0_441:                              ;   Parent Loop BB0_3 Depth=1
                                        ; =>  This Inner Loop Header: Depth=2
	s_ashr_i32 s22, s17, 1
	s_mov_b32 s23, exec_lo
	s_wait_storecnt_dscnt 0x0
	s_barrier_signal -1
	s_barrier_wait -1
	v_cmpx_ge_u32_e64 s16, v0
	s_cbranch_execz .LBB0_440
; %bb.442:                              ;   in Loop: Header=BB0_441 Depth=2
	v_mul_lo_u32 v3, s22, v35
	s_and_b32 s17, s17, -4
	s_delay_alu instid0(VALU_DEP_1) | instskip(NEXT) | instid1(VALU_DEP_1)
	v_lshlrev_b32_e32 v3, 2, v3
	v_add3_u32 v3, 0, v3, -4
	s_delay_alu instid0(VALU_DEP_1)
	v_add_nc_u32_e32 v4, s17, v3
	ds_load_b32 v3, v3
	ds_load_b32 v5, v4
	s_wait_dscnt 0x0
	v_add_nc_u32_e32 v3, v5, v3
	ds_store_b32 v4, v3
	s_branch .LBB0_440
.LBB0_443:                              ;   in Loop: Header=BB0_3 Depth=1
	v_mov_b32_e32 v4, s19
	s_wait_storecnt_dscnt 0x0
	s_barrier_signal -1
	s_barrier_wait -1
	ds_load_b32 v3, v1
	ds_load_b32 v4, v4
	s_wait_dscnt 0x0
	s_barrier_signal -1
	s_barrier_wait -1
	s_and_saveexec_b32 s3, s1
	s_cbranch_execz .LBB0_445
; %bb.444:                              ;   in Loop: Header=BB0_3 Depth=1
	v_mov_b32_e32 v5, s19
	ds_load_b32 v6, v1
	ds_load_b32 v7, v5
	s_wait_dscnt 0x0
	v_add_nc_u32_e32 v6, v7, v6
	ds_store_b32 v5, v6
.LBB0_445:                              ;   in Loop: Header=BB0_3 Depth=1
	s_or_b32 exec_lo, exec_lo, s3
	s_delay_alu instid0(SALU_CYCLE_1)
	s_mov_b32 s3, exec_lo
	v_cmpx_ne_u32_e64 s5, v21
	s_cbranch_execz .LBB0_447
; %bb.446:                              ;   in Loop: Header=BB0_3 Depth=1
	v_sub_nc_u32_e32 v2, v3, v2
	s_delay_alu instid0(VALU_DEP_1)
	v_add_nc_u32_e32 v2, v2, v4
	global_store_b32 v2, v21, s[8:9] scale_offset
.LBB0_447:                              ;   in Loop: Header=BB0_3 Depth=1
	s_wait_xcnt 0x0
	s_or_b32 exec_lo, exec_lo, s3
	v_cmp_ne_u32_e32 vcc_lo, s5, v22
	s_mov_b32 s3, 1
	v_cndmask_b32_e64 v2, 0, 1, vcc_lo
	s_and_not1_b32 vcc_lo, exec_lo, s20
	ds_store_b32 v1, v2
	s_cbranch_vccnz .LBB0_453
; %bb.448:                              ;   in Loop: Header=BB0_3 Depth=1
	s_mov_b32 s16, s15
.LBB0_449:                              ;   Parent Loop BB0_3 Depth=1
                                        ; =>  This Inner Loop Header: Depth=2
	s_delay_alu instid0(SALU_CYCLE_1)
	s_lshr_b32 s17, s16, 1
	s_mov_b32 s22, exec_lo
	s_wait_storecnt_dscnt 0x0
	s_barrier_signal -1
	s_barrier_wait -1
	v_cmpx_gt_u32_e64 s17, v0
	s_cbranch_execz .LBB0_451
; %bb.450:                              ;   in Loop: Header=BB0_449 Depth=2
	v_mul_lo_u32 v3, s3, v34
	s_delay_alu instid0(VALU_DEP_1) | instskip(NEXT) | instid1(VALU_DEP_1)
	v_lshlrev_b32_e32 v3, 2, v3
	v_add3_u32 v3, 0, v3, -4
	s_delay_alu instid0(VALU_DEP_1)
	v_lshl_add_u32 v4, s3, 2, v3
	ds_load_b32 v3, v3
	ds_load_b32 v5, v4
	s_wait_dscnt 0x0
	v_add_nc_u32_e32 v3, v5, v3
	ds_store_b32 v4, v3
.LBB0_451:                              ;   in Loop: Header=BB0_449 Depth=2
	s_or_b32 exec_lo, exec_lo, s22
	s_lshl_b32 s3, s3, 1
	s_cmp_gt_u32 s16, 3
	s_cbranch_scc0 .LBB0_453
; %bb.452:                              ;   in Loop: Header=BB0_449 Depth=2
	s_mov_b32 s16, s17
	s_branch .LBB0_449
.LBB0_453:                              ;   in Loop: Header=BB0_3 Depth=1
	s_cmp_lt_i32 s3, s15
	s_cselect_b32 s16, -1, 0
	s_delay_alu instid0(SALU_CYCLE_1) | instskip(NEXT) | instid1(VALU_DEP_1)
	v_cndmask_b32_e64 v3, 0, 1, s16
	v_readfirstlane_b32 s16, v3
	s_lshl_b32 s17, s3, s16
	s_delay_alu instid0(SALU_CYCLE_1) | instskip(NEXT) | instid1(SALU_CYCLE_1)
	s_ashr_i32 s3, s17, 1
	s_cmp_lt_i32 s3, 1
	s_cbranch_scc1 .LBB0_458
; %bb.454:                              ;   in Loop: Header=BB0_3 Depth=1
	s_mov_b32 s16, 0
	s_branch .LBB0_456
.LBB0_455:                              ;   in Loop: Header=BB0_456 Depth=2
	s_or_b32 exec_lo, exec_lo, s23
	s_lshl_b32 s16, s16, 1
	s_mov_b32 s17, s22
	s_or_b32 s16, s16, 2
	s_delay_alu instid0(SALU_CYCLE_1)
	s_cmp_lt_i32 s16, s3
	s_cbranch_scc0 .LBB0_458
.LBB0_456:                              ;   Parent Loop BB0_3 Depth=1
                                        ; =>  This Inner Loop Header: Depth=2
	s_ashr_i32 s22, s17, 1
	s_mov_b32 s23, exec_lo
	s_wait_storecnt_dscnt 0x0
	s_barrier_signal -1
	s_barrier_wait -1
	v_cmpx_ge_u32_e64 s16, v0
	s_cbranch_execz .LBB0_455
; %bb.457:                              ;   in Loop: Header=BB0_456 Depth=2
	v_mul_lo_u32 v3, s22, v35
	s_and_b32 s17, s17, -4
	s_delay_alu instid0(VALU_DEP_1) | instskip(NEXT) | instid1(VALU_DEP_1)
	v_lshlrev_b32_e32 v3, 2, v3
	v_add3_u32 v3, 0, v3, -4
	s_delay_alu instid0(VALU_DEP_1)
	v_add_nc_u32_e32 v4, s17, v3
	ds_load_b32 v3, v3
	ds_load_b32 v5, v4
	s_wait_dscnt 0x0
	v_add_nc_u32_e32 v3, v5, v3
	ds_store_b32 v4, v3
	s_branch .LBB0_455
.LBB0_458:                              ;   in Loop: Header=BB0_3 Depth=1
	v_mov_b32_e32 v4, s19
	s_wait_storecnt_dscnt 0x0
	s_barrier_signal -1
	s_barrier_wait -1
	ds_load_b32 v3, v1
	ds_load_b32 v4, v4
	s_wait_dscnt 0x0
	s_barrier_signal -1
	s_barrier_wait -1
	s_and_saveexec_b32 s3, s1
	s_cbranch_execz .LBB0_460
; %bb.459:                              ;   in Loop: Header=BB0_3 Depth=1
	v_mov_b32_e32 v5, s19
	ds_load_b32 v6, v1
	ds_load_b32 v7, v5
	s_wait_dscnt 0x0
	v_add_nc_u32_e32 v6, v7, v6
	ds_store_b32 v5, v6
.LBB0_460:                              ;   in Loop: Header=BB0_3 Depth=1
	s_or_b32 exec_lo, exec_lo, s3
	s_delay_alu instid0(SALU_CYCLE_1)
	s_mov_b32 s3, exec_lo
	v_cmpx_ne_u32_e64 s5, v22
	s_cbranch_execz .LBB0_462
; %bb.461:                              ;   in Loop: Header=BB0_3 Depth=1
	v_sub_nc_u32_e32 v2, v3, v2
	s_delay_alu instid0(VALU_DEP_1)
	v_add_nc_u32_e32 v2, v2, v4
	global_store_b32 v2, v22, s[8:9] scale_offset
.LBB0_462:                              ;   in Loop: Header=BB0_3 Depth=1
	s_wait_xcnt 0x0
	s_or_b32 exec_lo, exec_lo, s3
	v_cmp_ne_u32_e32 vcc_lo, s5, v23
	s_mov_b32 s3, 1
	v_cndmask_b32_e64 v2, 0, 1, vcc_lo
	s_and_not1_b32 vcc_lo, exec_lo, s20
	ds_store_b32 v1, v2
	s_cbranch_vccnz .LBB0_468
; %bb.463:                              ;   in Loop: Header=BB0_3 Depth=1
	s_mov_b32 s16, s15
.LBB0_464:                              ;   Parent Loop BB0_3 Depth=1
                                        ; =>  This Inner Loop Header: Depth=2
	s_delay_alu instid0(SALU_CYCLE_1)
	s_lshr_b32 s17, s16, 1
	s_mov_b32 s22, exec_lo
	s_wait_storecnt_dscnt 0x0
	s_barrier_signal -1
	s_barrier_wait -1
	v_cmpx_gt_u32_e64 s17, v0
	s_cbranch_execz .LBB0_466
; %bb.465:                              ;   in Loop: Header=BB0_464 Depth=2
	v_mul_lo_u32 v3, s3, v34
	s_delay_alu instid0(VALU_DEP_1) | instskip(NEXT) | instid1(VALU_DEP_1)
	v_lshlrev_b32_e32 v3, 2, v3
	v_add3_u32 v3, 0, v3, -4
	s_delay_alu instid0(VALU_DEP_1)
	v_lshl_add_u32 v4, s3, 2, v3
	ds_load_b32 v3, v3
	ds_load_b32 v5, v4
	s_wait_dscnt 0x0
	v_add_nc_u32_e32 v3, v5, v3
	ds_store_b32 v4, v3
.LBB0_466:                              ;   in Loop: Header=BB0_464 Depth=2
	s_or_b32 exec_lo, exec_lo, s22
	s_lshl_b32 s3, s3, 1
	s_cmp_gt_u32 s16, 3
	s_cbranch_scc0 .LBB0_468
; %bb.467:                              ;   in Loop: Header=BB0_464 Depth=2
	s_mov_b32 s16, s17
	s_branch .LBB0_464
.LBB0_468:                              ;   in Loop: Header=BB0_3 Depth=1
	s_cmp_lt_i32 s3, s15
	s_cselect_b32 s16, -1, 0
	s_delay_alu instid0(SALU_CYCLE_1) | instskip(NEXT) | instid1(VALU_DEP_1)
	v_cndmask_b32_e64 v3, 0, 1, s16
	v_readfirstlane_b32 s16, v3
	s_lshl_b32 s17, s3, s16
	s_delay_alu instid0(SALU_CYCLE_1) | instskip(NEXT) | instid1(SALU_CYCLE_1)
	s_ashr_i32 s3, s17, 1
	s_cmp_lt_i32 s3, 1
	s_cbranch_scc1 .LBB0_473
; %bb.469:                              ;   in Loop: Header=BB0_3 Depth=1
	s_mov_b32 s16, 0
	s_branch .LBB0_471
.LBB0_470:                              ;   in Loop: Header=BB0_471 Depth=2
	s_or_b32 exec_lo, exec_lo, s23
	s_lshl_b32 s16, s16, 1
	s_mov_b32 s17, s22
	s_or_b32 s16, s16, 2
	s_delay_alu instid0(SALU_CYCLE_1)
	s_cmp_lt_i32 s16, s3
	s_cbranch_scc0 .LBB0_473
.LBB0_471:                              ;   Parent Loop BB0_3 Depth=1
                                        ; =>  This Inner Loop Header: Depth=2
	s_ashr_i32 s22, s17, 1
	s_mov_b32 s23, exec_lo
	s_wait_storecnt_dscnt 0x0
	s_barrier_signal -1
	s_barrier_wait -1
	v_cmpx_ge_u32_e64 s16, v0
	s_cbranch_execz .LBB0_470
; %bb.472:                              ;   in Loop: Header=BB0_471 Depth=2
	v_mul_lo_u32 v3, s22, v35
	s_and_b32 s17, s17, -4
	s_delay_alu instid0(VALU_DEP_1) | instskip(NEXT) | instid1(VALU_DEP_1)
	v_lshlrev_b32_e32 v3, 2, v3
	v_add3_u32 v3, 0, v3, -4
	s_delay_alu instid0(VALU_DEP_1)
	v_add_nc_u32_e32 v4, s17, v3
	ds_load_b32 v3, v3
	ds_load_b32 v5, v4
	s_wait_dscnt 0x0
	v_add_nc_u32_e32 v3, v5, v3
	ds_store_b32 v4, v3
	s_branch .LBB0_470
.LBB0_473:                              ;   in Loop: Header=BB0_3 Depth=1
	v_mov_b32_e32 v4, s19
	s_wait_storecnt_dscnt 0x0
	s_barrier_signal -1
	s_barrier_wait -1
	ds_load_b32 v3, v1
	ds_load_b32 v4, v4
	s_wait_dscnt 0x0
	s_barrier_signal -1
	s_barrier_wait -1
	s_and_saveexec_b32 s3, s1
	s_cbranch_execz .LBB0_475
; %bb.474:                              ;   in Loop: Header=BB0_3 Depth=1
	v_mov_b32_e32 v5, s19
	ds_load_b32 v6, v1
	ds_load_b32 v7, v5
	s_wait_dscnt 0x0
	v_add_nc_u32_e32 v6, v7, v6
	ds_store_b32 v5, v6
.LBB0_475:                              ;   in Loop: Header=BB0_3 Depth=1
	s_or_b32 exec_lo, exec_lo, s3
	s_delay_alu instid0(SALU_CYCLE_1)
	s_mov_b32 s3, exec_lo
	v_cmpx_ne_u32_e64 s5, v23
	s_cbranch_execz .LBB0_477
; %bb.476:                              ;   in Loop: Header=BB0_3 Depth=1
	v_sub_nc_u32_e32 v2, v3, v2
	s_delay_alu instid0(VALU_DEP_1)
	v_add_nc_u32_e32 v2, v2, v4
	global_store_b32 v2, v23, s[8:9] scale_offset
.LBB0_477:                              ;   in Loop: Header=BB0_3 Depth=1
	s_wait_xcnt 0x0
	s_or_b32 exec_lo, exec_lo, s3
	v_cmp_ne_u32_e32 vcc_lo, s5, v24
	s_mov_b32 s3, 1
	v_cndmask_b32_e64 v2, 0, 1, vcc_lo
	s_and_not1_b32 vcc_lo, exec_lo, s20
	ds_store_b32 v1, v2
	s_cbranch_vccnz .LBB0_483
; %bb.478:                              ;   in Loop: Header=BB0_3 Depth=1
	s_mov_b32 s16, s15
.LBB0_479:                              ;   Parent Loop BB0_3 Depth=1
                                        ; =>  This Inner Loop Header: Depth=2
	s_delay_alu instid0(SALU_CYCLE_1)
	s_lshr_b32 s17, s16, 1
	s_mov_b32 s22, exec_lo
	s_wait_storecnt_dscnt 0x0
	s_barrier_signal -1
	s_barrier_wait -1
	v_cmpx_gt_u32_e64 s17, v0
	s_cbranch_execz .LBB0_481
; %bb.480:                              ;   in Loop: Header=BB0_479 Depth=2
	v_mul_lo_u32 v3, s3, v34
	s_delay_alu instid0(VALU_DEP_1) | instskip(NEXT) | instid1(VALU_DEP_1)
	v_lshlrev_b32_e32 v3, 2, v3
	v_add3_u32 v3, 0, v3, -4
	s_delay_alu instid0(VALU_DEP_1)
	v_lshl_add_u32 v4, s3, 2, v3
	ds_load_b32 v3, v3
	ds_load_b32 v5, v4
	s_wait_dscnt 0x0
	v_add_nc_u32_e32 v3, v5, v3
	ds_store_b32 v4, v3
.LBB0_481:                              ;   in Loop: Header=BB0_479 Depth=2
	s_or_b32 exec_lo, exec_lo, s22
	s_lshl_b32 s3, s3, 1
	s_cmp_gt_u32 s16, 3
	s_cbranch_scc0 .LBB0_483
; %bb.482:                              ;   in Loop: Header=BB0_479 Depth=2
	s_mov_b32 s16, s17
	s_branch .LBB0_479
.LBB0_483:                              ;   in Loop: Header=BB0_3 Depth=1
	s_cmp_lt_i32 s3, s15
	s_cselect_b32 s16, -1, 0
	s_delay_alu instid0(SALU_CYCLE_1) | instskip(NEXT) | instid1(VALU_DEP_1)
	v_cndmask_b32_e64 v3, 0, 1, s16
	v_readfirstlane_b32 s16, v3
	s_lshl_b32 s17, s3, s16
	s_delay_alu instid0(SALU_CYCLE_1) | instskip(NEXT) | instid1(SALU_CYCLE_1)
	s_ashr_i32 s3, s17, 1
	s_cmp_lt_i32 s3, 1
	s_cbranch_scc1 .LBB0_488
; %bb.484:                              ;   in Loop: Header=BB0_3 Depth=1
	s_mov_b32 s16, 0
	s_branch .LBB0_486
.LBB0_485:                              ;   in Loop: Header=BB0_486 Depth=2
	s_or_b32 exec_lo, exec_lo, s23
	s_lshl_b32 s16, s16, 1
	s_mov_b32 s17, s22
	s_or_b32 s16, s16, 2
	s_delay_alu instid0(SALU_CYCLE_1)
	s_cmp_lt_i32 s16, s3
	s_cbranch_scc0 .LBB0_488
.LBB0_486:                              ;   Parent Loop BB0_3 Depth=1
                                        ; =>  This Inner Loop Header: Depth=2
	s_ashr_i32 s22, s17, 1
	s_mov_b32 s23, exec_lo
	s_wait_storecnt_dscnt 0x0
	s_barrier_signal -1
	s_barrier_wait -1
	v_cmpx_ge_u32_e64 s16, v0
	s_cbranch_execz .LBB0_485
; %bb.487:                              ;   in Loop: Header=BB0_486 Depth=2
	v_mul_lo_u32 v3, s22, v35
	s_and_b32 s17, s17, -4
	s_delay_alu instid0(VALU_DEP_1) | instskip(NEXT) | instid1(VALU_DEP_1)
	v_lshlrev_b32_e32 v3, 2, v3
	v_add3_u32 v3, 0, v3, -4
	s_delay_alu instid0(VALU_DEP_1)
	v_add_nc_u32_e32 v4, s17, v3
	ds_load_b32 v3, v3
	ds_load_b32 v5, v4
	s_wait_dscnt 0x0
	v_add_nc_u32_e32 v3, v5, v3
	ds_store_b32 v4, v3
	s_branch .LBB0_485
.LBB0_488:                              ;   in Loop: Header=BB0_3 Depth=1
	v_mov_b32_e32 v4, s19
	s_wait_storecnt_dscnt 0x0
	s_barrier_signal -1
	s_barrier_wait -1
	ds_load_b32 v3, v1
	ds_load_b32 v4, v4
	s_wait_dscnt 0x0
	s_barrier_signal -1
	s_barrier_wait -1
	s_and_saveexec_b32 s3, s1
	s_cbranch_execz .LBB0_490
; %bb.489:                              ;   in Loop: Header=BB0_3 Depth=1
	v_mov_b32_e32 v5, s19
	ds_load_b32 v6, v1
	ds_load_b32 v7, v5
	s_wait_dscnt 0x0
	v_add_nc_u32_e32 v6, v7, v6
	ds_store_b32 v5, v6
.LBB0_490:                              ;   in Loop: Header=BB0_3 Depth=1
	s_or_b32 exec_lo, exec_lo, s3
	s_delay_alu instid0(SALU_CYCLE_1)
	s_mov_b32 s3, exec_lo
	v_cmpx_ne_u32_e64 s5, v24
	s_cbranch_execz .LBB0_492
; %bb.491:                              ;   in Loop: Header=BB0_3 Depth=1
	v_sub_nc_u32_e32 v2, v3, v2
	s_delay_alu instid0(VALU_DEP_1)
	v_add_nc_u32_e32 v2, v2, v4
	global_store_b32 v2, v24, s[8:9] scale_offset
.LBB0_492:                              ;   in Loop: Header=BB0_3 Depth=1
	s_wait_xcnt 0x0
	s_or_b32 exec_lo, exec_lo, s3
	v_cmp_ne_u32_e32 vcc_lo, s5, v25
	s_mov_b32 s3, 1
	v_cndmask_b32_e64 v2, 0, 1, vcc_lo
	s_and_not1_b32 vcc_lo, exec_lo, s20
	ds_store_b32 v1, v2
	s_cbranch_vccnz .LBB0_498
; %bb.493:                              ;   in Loop: Header=BB0_3 Depth=1
	s_mov_b32 s16, s15
.LBB0_494:                              ;   Parent Loop BB0_3 Depth=1
                                        ; =>  This Inner Loop Header: Depth=2
	s_delay_alu instid0(SALU_CYCLE_1)
	s_lshr_b32 s17, s16, 1
	s_mov_b32 s22, exec_lo
	s_wait_storecnt_dscnt 0x0
	s_barrier_signal -1
	s_barrier_wait -1
	v_cmpx_gt_u32_e64 s17, v0
	s_cbranch_execz .LBB0_496
; %bb.495:                              ;   in Loop: Header=BB0_494 Depth=2
	v_mul_lo_u32 v3, s3, v34
	s_delay_alu instid0(VALU_DEP_1) | instskip(NEXT) | instid1(VALU_DEP_1)
	v_lshlrev_b32_e32 v3, 2, v3
	v_add3_u32 v3, 0, v3, -4
	s_delay_alu instid0(VALU_DEP_1)
	v_lshl_add_u32 v4, s3, 2, v3
	ds_load_b32 v3, v3
	ds_load_b32 v5, v4
	s_wait_dscnt 0x0
	v_add_nc_u32_e32 v3, v5, v3
	ds_store_b32 v4, v3
.LBB0_496:                              ;   in Loop: Header=BB0_494 Depth=2
	s_or_b32 exec_lo, exec_lo, s22
	s_lshl_b32 s3, s3, 1
	s_cmp_gt_u32 s16, 3
	s_cbranch_scc0 .LBB0_498
; %bb.497:                              ;   in Loop: Header=BB0_494 Depth=2
	s_mov_b32 s16, s17
	s_branch .LBB0_494
.LBB0_498:                              ;   in Loop: Header=BB0_3 Depth=1
	s_cmp_lt_i32 s3, s15
	s_cselect_b32 s16, -1, 0
	s_delay_alu instid0(SALU_CYCLE_1) | instskip(NEXT) | instid1(VALU_DEP_1)
	v_cndmask_b32_e64 v3, 0, 1, s16
	v_readfirstlane_b32 s16, v3
	s_lshl_b32 s17, s3, s16
	s_delay_alu instid0(SALU_CYCLE_1) | instskip(NEXT) | instid1(SALU_CYCLE_1)
	s_ashr_i32 s3, s17, 1
	s_cmp_lt_i32 s3, 1
	s_cbranch_scc1 .LBB0_503
; %bb.499:                              ;   in Loop: Header=BB0_3 Depth=1
	s_mov_b32 s16, 0
	s_branch .LBB0_501
.LBB0_500:                              ;   in Loop: Header=BB0_501 Depth=2
	s_or_b32 exec_lo, exec_lo, s23
	s_lshl_b32 s16, s16, 1
	s_mov_b32 s17, s22
	s_or_b32 s16, s16, 2
	s_delay_alu instid0(SALU_CYCLE_1)
	s_cmp_lt_i32 s16, s3
	s_cbranch_scc0 .LBB0_503
.LBB0_501:                              ;   Parent Loop BB0_3 Depth=1
                                        ; =>  This Inner Loop Header: Depth=2
	s_ashr_i32 s22, s17, 1
	s_mov_b32 s23, exec_lo
	s_wait_storecnt_dscnt 0x0
	s_barrier_signal -1
	s_barrier_wait -1
	v_cmpx_ge_u32_e64 s16, v0
	s_cbranch_execz .LBB0_500
; %bb.502:                              ;   in Loop: Header=BB0_501 Depth=2
	v_mul_lo_u32 v3, s22, v35
	s_and_b32 s17, s17, -4
	s_delay_alu instid0(VALU_DEP_1) | instskip(NEXT) | instid1(VALU_DEP_1)
	v_lshlrev_b32_e32 v3, 2, v3
	v_add3_u32 v3, 0, v3, -4
	s_delay_alu instid0(VALU_DEP_1)
	v_add_nc_u32_e32 v4, s17, v3
	ds_load_b32 v3, v3
	ds_load_b32 v5, v4
	s_wait_dscnt 0x0
	v_add_nc_u32_e32 v3, v5, v3
	ds_store_b32 v4, v3
	s_branch .LBB0_500
.LBB0_503:                              ;   in Loop: Header=BB0_3 Depth=1
	v_mov_b32_e32 v4, s19
	s_wait_storecnt_dscnt 0x0
	s_barrier_signal -1
	s_barrier_wait -1
	ds_load_b32 v3, v1
	ds_load_b32 v4, v4
	s_wait_dscnt 0x0
	s_barrier_signal -1
	s_barrier_wait -1
	s_and_saveexec_b32 s3, s1
	s_cbranch_execz .LBB0_505
; %bb.504:                              ;   in Loop: Header=BB0_3 Depth=1
	v_mov_b32_e32 v5, s19
	ds_load_b32 v6, v1
	ds_load_b32 v7, v5
	s_wait_dscnt 0x0
	v_add_nc_u32_e32 v6, v7, v6
	ds_store_b32 v5, v6
.LBB0_505:                              ;   in Loop: Header=BB0_3 Depth=1
	s_or_b32 exec_lo, exec_lo, s3
	s_delay_alu instid0(SALU_CYCLE_1)
	s_mov_b32 s3, exec_lo
	v_cmpx_ne_u32_e64 s5, v25
	s_cbranch_execz .LBB0_507
; %bb.506:                              ;   in Loop: Header=BB0_3 Depth=1
	v_sub_nc_u32_e32 v2, v3, v2
	s_delay_alu instid0(VALU_DEP_1)
	v_add_nc_u32_e32 v2, v2, v4
	global_store_b32 v2, v25, s[8:9] scale_offset
.LBB0_507:                              ;   in Loop: Header=BB0_3 Depth=1
	s_wait_xcnt 0x0
	s_or_b32 exec_lo, exec_lo, s3
	v_cmp_ne_u32_e32 vcc_lo, s5, v26
	s_mov_b32 s3, 1
	v_cndmask_b32_e64 v2, 0, 1, vcc_lo
	s_and_not1_b32 vcc_lo, exec_lo, s20
	ds_store_b32 v1, v2
	s_cbranch_vccnz .LBB0_513
; %bb.508:                              ;   in Loop: Header=BB0_3 Depth=1
	s_mov_b32 s16, s15
.LBB0_509:                              ;   Parent Loop BB0_3 Depth=1
                                        ; =>  This Inner Loop Header: Depth=2
	s_delay_alu instid0(SALU_CYCLE_1)
	s_lshr_b32 s17, s16, 1
	s_mov_b32 s22, exec_lo
	s_wait_storecnt_dscnt 0x0
	s_barrier_signal -1
	s_barrier_wait -1
	v_cmpx_gt_u32_e64 s17, v0
	s_cbranch_execz .LBB0_511
; %bb.510:                              ;   in Loop: Header=BB0_509 Depth=2
	v_mul_lo_u32 v3, s3, v34
	s_delay_alu instid0(VALU_DEP_1) | instskip(NEXT) | instid1(VALU_DEP_1)
	v_lshlrev_b32_e32 v3, 2, v3
	v_add3_u32 v3, 0, v3, -4
	s_delay_alu instid0(VALU_DEP_1)
	v_lshl_add_u32 v4, s3, 2, v3
	ds_load_b32 v3, v3
	ds_load_b32 v5, v4
	s_wait_dscnt 0x0
	v_add_nc_u32_e32 v3, v5, v3
	ds_store_b32 v4, v3
.LBB0_511:                              ;   in Loop: Header=BB0_509 Depth=2
	s_or_b32 exec_lo, exec_lo, s22
	s_lshl_b32 s3, s3, 1
	s_cmp_gt_u32 s16, 3
	s_cbranch_scc0 .LBB0_513
; %bb.512:                              ;   in Loop: Header=BB0_509 Depth=2
	s_mov_b32 s16, s17
	s_branch .LBB0_509
.LBB0_513:                              ;   in Loop: Header=BB0_3 Depth=1
	s_cmp_lt_i32 s3, s15
	s_cselect_b32 s16, -1, 0
	s_delay_alu instid0(SALU_CYCLE_1) | instskip(NEXT) | instid1(VALU_DEP_1)
	v_cndmask_b32_e64 v3, 0, 1, s16
	v_readfirstlane_b32 s16, v3
	s_lshl_b32 s17, s3, s16
	s_delay_alu instid0(SALU_CYCLE_1) | instskip(NEXT) | instid1(SALU_CYCLE_1)
	s_ashr_i32 s3, s17, 1
	s_cmp_lt_i32 s3, 1
	s_cbranch_scc1 .LBB0_518
; %bb.514:                              ;   in Loop: Header=BB0_3 Depth=1
	s_mov_b32 s16, 0
	s_branch .LBB0_516
.LBB0_515:                              ;   in Loop: Header=BB0_516 Depth=2
	s_or_b32 exec_lo, exec_lo, s23
	s_lshl_b32 s16, s16, 1
	s_mov_b32 s17, s22
	s_or_b32 s16, s16, 2
	s_delay_alu instid0(SALU_CYCLE_1)
	s_cmp_lt_i32 s16, s3
	s_cbranch_scc0 .LBB0_518
.LBB0_516:                              ;   Parent Loop BB0_3 Depth=1
                                        ; =>  This Inner Loop Header: Depth=2
	s_ashr_i32 s22, s17, 1
	s_mov_b32 s23, exec_lo
	s_wait_storecnt_dscnt 0x0
	s_barrier_signal -1
	s_barrier_wait -1
	v_cmpx_ge_u32_e64 s16, v0
	s_cbranch_execz .LBB0_515
; %bb.517:                              ;   in Loop: Header=BB0_516 Depth=2
	v_mul_lo_u32 v3, s22, v35
	s_and_b32 s17, s17, -4
	s_delay_alu instid0(VALU_DEP_1) | instskip(NEXT) | instid1(VALU_DEP_1)
	v_lshlrev_b32_e32 v3, 2, v3
	v_add3_u32 v3, 0, v3, -4
	s_delay_alu instid0(VALU_DEP_1)
	v_add_nc_u32_e32 v4, s17, v3
	ds_load_b32 v3, v3
	ds_load_b32 v5, v4
	s_wait_dscnt 0x0
	v_add_nc_u32_e32 v3, v5, v3
	ds_store_b32 v4, v3
	s_branch .LBB0_515
.LBB0_518:                              ;   in Loop: Header=BB0_3 Depth=1
	v_mov_b32_e32 v4, s19
	s_wait_storecnt_dscnt 0x0
	s_barrier_signal -1
	s_barrier_wait -1
	ds_load_b32 v3, v1
	ds_load_b32 v4, v4
	s_wait_dscnt 0x0
	s_barrier_signal -1
	s_barrier_wait -1
	s_and_saveexec_b32 s3, s1
	s_cbranch_execz .LBB0_520
; %bb.519:                              ;   in Loop: Header=BB0_3 Depth=1
	v_mov_b32_e32 v5, s19
	ds_load_b32 v6, v1
	ds_load_b32 v7, v5
	s_wait_dscnt 0x0
	v_add_nc_u32_e32 v6, v7, v6
	ds_store_b32 v5, v6
.LBB0_520:                              ;   in Loop: Header=BB0_3 Depth=1
	s_or_b32 exec_lo, exec_lo, s3
	s_delay_alu instid0(SALU_CYCLE_1)
	s_mov_b32 s3, exec_lo
	v_cmpx_ne_u32_e64 s5, v26
	s_cbranch_execz .LBB0_522
; %bb.521:                              ;   in Loop: Header=BB0_3 Depth=1
	v_sub_nc_u32_e32 v2, v3, v2
	s_delay_alu instid0(VALU_DEP_1)
	v_add_nc_u32_e32 v2, v2, v4
	global_store_b32 v2, v26, s[8:9] scale_offset
.LBB0_522:                              ;   in Loop: Header=BB0_3 Depth=1
	s_wait_xcnt 0x0
	s_or_b32 exec_lo, exec_lo, s3
	v_cmp_ne_u32_e32 vcc_lo, s5, v27
	s_mov_b32 s3, 1
	v_cndmask_b32_e64 v2, 0, 1, vcc_lo
	s_and_not1_b32 vcc_lo, exec_lo, s20
	ds_store_b32 v1, v2
	s_cbranch_vccnz .LBB0_528
; %bb.523:                              ;   in Loop: Header=BB0_3 Depth=1
	s_mov_b32 s16, s15
.LBB0_524:                              ;   Parent Loop BB0_3 Depth=1
                                        ; =>  This Inner Loop Header: Depth=2
	s_delay_alu instid0(SALU_CYCLE_1)
	s_lshr_b32 s17, s16, 1
	s_mov_b32 s22, exec_lo
	s_wait_storecnt_dscnt 0x0
	s_barrier_signal -1
	s_barrier_wait -1
	v_cmpx_gt_u32_e64 s17, v0
	s_cbranch_execz .LBB0_526
; %bb.525:                              ;   in Loop: Header=BB0_524 Depth=2
	v_mul_lo_u32 v3, s3, v34
	s_delay_alu instid0(VALU_DEP_1) | instskip(NEXT) | instid1(VALU_DEP_1)
	v_lshlrev_b32_e32 v3, 2, v3
	v_add3_u32 v3, 0, v3, -4
	s_delay_alu instid0(VALU_DEP_1)
	v_lshl_add_u32 v4, s3, 2, v3
	ds_load_b32 v3, v3
	ds_load_b32 v5, v4
	s_wait_dscnt 0x0
	v_add_nc_u32_e32 v3, v5, v3
	ds_store_b32 v4, v3
.LBB0_526:                              ;   in Loop: Header=BB0_524 Depth=2
	s_or_b32 exec_lo, exec_lo, s22
	s_lshl_b32 s3, s3, 1
	s_cmp_gt_u32 s16, 3
	s_cbranch_scc0 .LBB0_528
; %bb.527:                              ;   in Loop: Header=BB0_524 Depth=2
	s_mov_b32 s16, s17
	s_branch .LBB0_524
.LBB0_528:                              ;   in Loop: Header=BB0_3 Depth=1
	s_cmp_lt_i32 s3, s15
	s_cselect_b32 s16, -1, 0
	s_delay_alu instid0(SALU_CYCLE_1) | instskip(NEXT) | instid1(VALU_DEP_1)
	v_cndmask_b32_e64 v3, 0, 1, s16
	v_readfirstlane_b32 s16, v3
	s_lshl_b32 s17, s3, s16
	s_delay_alu instid0(SALU_CYCLE_1) | instskip(NEXT) | instid1(SALU_CYCLE_1)
	s_ashr_i32 s3, s17, 1
	s_cmp_lt_i32 s3, 1
	s_cbranch_scc1 .LBB0_533
; %bb.529:                              ;   in Loop: Header=BB0_3 Depth=1
	s_mov_b32 s16, 0
	s_branch .LBB0_531
.LBB0_530:                              ;   in Loop: Header=BB0_531 Depth=2
	s_or_b32 exec_lo, exec_lo, s23
	s_lshl_b32 s16, s16, 1
	s_mov_b32 s17, s22
	s_or_b32 s16, s16, 2
	s_delay_alu instid0(SALU_CYCLE_1)
	s_cmp_lt_i32 s16, s3
	s_cbranch_scc0 .LBB0_533
.LBB0_531:                              ;   Parent Loop BB0_3 Depth=1
                                        ; =>  This Inner Loop Header: Depth=2
	s_ashr_i32 s22, s17, 1
	s_mov_b32 s23, exec_lo
	s_wait_storecnt_dscnt 0x0
	s_barrier_signal -1
	s_barrier_wait -1
	v_cmpx_ge_u32_e64 s16, v0
	s_cbranch_execz .LBB0_530
; %bb.532:                              ;   in Loop: Header=BB0_531 Depth=2
	v_mul_lo_u32 v3, s22, v35
	s_and_b32 s17, s17, -4
	s_delay_alu instid0(VALU_DEP_1) | instskip(NEXT) | instid1(VALU_DEP_1)
	v_lshlrev_b32_e32 v3, 2, v3
	v_add3_u32 v3, 0, v3, -4
	s_delay_alu instid0(VALU_DEP_1)
	v_add_nc_u32_e32 v4, s17, v3
	ds_load_b32 v3, v3
	ds_load_b32 v5, v4
	s_wait_dscnt 0x0
	v_add_nc_u32_e32 v3, v5, v3
	ds_store_b32 v4, v3
	s_branch .LBB0_530
.LBB0_533:                              ;   in Loop: Header=BB0_3 Depth=1
	v_mov_b32_e32 v4, s19
	s_wait_storecnt_dscnt 0x0
	s_barrier_signal -1
	s_barrier_wait -1
	ds_load_b32 v3, v1
	ds_load_b32 v4, v4
	s_wait_dscnt 0x0
	s_barrier_signal -1
	s_barrier_wait -1
	s_and_saveexec_b32 s3, s1
	s_cbranch_execz .LBB0_535
; %bb.534:                              ;   in Loop: Header=BB0_3 Depth=1
	v_mov_b32_e32 v5, s19
	ds_load_b32 v6, v1
	ds_load_b32 v7, v5
	s_wait_dscnt 0x0
	v_add_nc_u32_e32 v6, v7, v6
	ds_store_b32 v5, v6
.LBB0_535:                              ;   in Loop: Header=BB0_3 Depth=1
	s_or_b32 exec_lo, exec_lo, s3
	s_delay_alu instid0(SALU_CYCLE_1)
	s_mov_b32 s3, exec_lo
	v_cmpx_ne_u32_e64 s5, v27
	s_cbranch_execz .LBB0_537
; %bb.536:                              ;   in Loop: Header=BB0_3 Depth=1
	v_sub_nc_u32_e32 v2, v3, v2
	s_delay_alu instid0(VALU_DEP_1)
	v_add_nc_u32_e32 v2, v2, v4
	global_store_b32 v2, v27, s[8:9] scale_offset
.LBB0_537:                              ;   in Loop: Header=BB0_3 Depth=1
	s_wait_xcnt 0x0
	s_or_b32 exec_lo, exec_lo, s3
	v_cmp_ne_u32_e32 vcc_lo, s5, v28
	s_mov_b32 s3, 1
	v_cndmask_b32_e64 v2, 0, 1, vcc_lo
	s_and_not1_b32 vcc_lo, exec_lo, s20
	ds_store_b32 v1, v2
	s_cbranch_vccnz .LBB0_543
; %bb.538:                              ;   in Loop: Header=BB0_3 Depth=1
	s_mov_b32 s16, s15
.LBB0_539:                              ;   Parent Loop BB0_3 Depth=1
                                        ; =>  This Inner Loop Header: Depth=2
	s_delay_alu instid0(SALU_CYCLE_1)
	s_lshr_b32 s17, s16, 1
	s_mov_b32 s22, exec_lo
	s_wait_storecnt_dscnt 0x0
	s_barrier_signal -1
	s_barrier_wait -1
	v_cmpx_gt_u32_e64 s17, v0
	s_cbranch_execz .LBB0_541
; %bb.540:                              ;   in Loop: Header=BB0_539 Depth=2
	v_mul_lo_u32 v3, s3, v34
	s_delay_alu instid0(VALU_DEP_1) | instskip(NEXT) | instid1(VALU_DEP_1)
	v_lshlrev_b32_e32 v3, 2, v3
	v_add3_u32 v3, 0, v3, -4
	s_delay_alu instid0(VALU_DEP_1)
	v_lshl_add_u32 v4, s3, 2, v3
	ds_load_b32 v3, v3
	ds_load_b32 v5, v4
	s_wait_dscnt 0x0
	v_add_nc_u32_e32 v3, v5, v3
	ds_store_b32 v4, v3
.LBB0_541:                              ;   in Loop: Header=BB0_539 Depth=2
	s_or_b32 exec_lo, exec_lo, s22
	s_lshl_b32 s3, s3, 1
	s_cmp_gt_u32 s16, 3
	s_cbranch_scc0 .LBB0_543
; %bb.542:                              ;   in Loop: Header=BB0_539 Depth=2
	s_mov_b32 s16, s17
	s_branch .LBB0_539
.LBB0_543:                              ;   in Loop: Header=BB0_3 Depth=1
	s_cmp_lt_i32 s3, s15
	s_cselect_b32 s16, -1, 0
	s_delay_alu instid0(SALU_CYCLE_1) | instskip(NEXT) | instid1(VALU_DEP_1)
	v_cndmask_b32_e64 v3, 0, 1, s16
	v_readfirstlane_b32 s16, v3
	s_lshl_b32 s17, s3, s16
	s_delay_alu instid0(SALU_CYCLE_1) | instskip(NEXT) | instid1(SALU_CYCLE_1)
	s_ashr_i32 s3, s17, 1
	s_cmp_lt_i32 s3, 1
	s_cbranch_scc1 .LBB0_548
; %bb.544:                              ;   in Loop: Header=BB0_3 Depth=1
	s_mov_b32 s16, 0
	s_branch .LBB0_546
.LBB0_545:                              ;   in Loop: Header=BB0_546 Depth=2
	s_or_b32 exec_lo, exec_lo, s23
	s_lshl_b32 s16, s16, 1
	s_mov_b32 s17, s22
	s_or_b32 s16, s16, 2
	s_delay_alu instid0(SALU_CYCLE_1)
	s_cmp_lt_i32 s16, s3
	s_cbranch_scc0 .LBB0_548
.LBB0_546:                              ;   Parent Loop BB0_3 Depth=1
                                        ; =>  This Inner Loop Header: Depth=2
	s_ashr_i32 s22, s17, 1
	s_mov_b32 s23, exec_lo
	s_wait_storecnt_dscnt 0x0
	s_barrier_signal -1
	s_barrier_wait -1
	v_cmpx_ge_u32_e64 s16, v0
	s_cbranch_execz .LBB0_545
; %bb.547:                              ;   in Loop: Header=BB0_546 Depth=2
	v_mul_lo_u32 v3, s22, v35
	s_and_b32 s17, s17, -4
	s_delay_alu instid0(VALU_DEP_1) | instskip(NEXT) | instid1(VALU_DEP_1)
	v_lshlrev_b32_e32 v3, 2, v3
	v_add3_u32 v3, 0, v3, -4
	s_delay_alu instid0(VALU_DEP_1)
	v_add_nc_u32_e32 v4, s17, v3
	ds_load_b32 v3, v3
	ds_load_b32 v5, v4
	s_wait_dscnt 0x0
	v_add_nc_u32_e32 v3, v5, v3
	ds_store_b32 v4, v3
	s_branch .LBB0_545
.LBB0_548:                              ;   in Loop: Header=BB0_3 Depth=1
	v_mov_b32_e32 v4, s19
	s_wait_storecnt_dscnt 0x0
	s_barrier_signal -1
	s_barrier_wait -1
	ds_load_b32 v3, v1
	ds_load_b32 v4, v4
	s_wait_dscnt 0x0
	s_barrier_signal -1
	s_barrier_wait -1
	s_and_saveexec_b32 s3, s1
	s_cbranch_execz .LBB0_550
; %bb.549:                              ;   in Loop: Header=BB0_3 Depth=1
	v_mov_b32_e32 v5, s19
	ds_load_b32 v6, v1
	ds_load_b32 v7, v5
	s_wait_dscnt 0x0
	v_add_nc_u32_e32 v6, v7, v6
	ds_store_b32 v5, v6
.LBB0_550:                              ;   in Loop: Header=BB0_3 Depth=1
	s_or_b32 exec_lo, exec_lo, s3
	s_delay_alu instid0(SALU_CYCLE_1)
	s_mov_b32 s3, exec_lo
	v_cmpx_ne_u32_e64 s5, v28
	s_cbranch_execz .LBB0_552
; %bb.551:                              ;   in Loop: Header=BB0_3 Depth=1
	v_sub_nc_u32_e32 v2, v3, v2
	s_delay_alu instid0(VALU_DEP_1)
	v_add_nc_u32_e32 v2, v2, v4
	global_store_b32 v2, v28, s[8:9] scale_offset
.LBB0_552:                              ;   in Loop: Header=BB0_3 Depth=1
	s_wait_xcnt 0x0
	s_or_b32 exec_lo, exec_lo, s3
	v_cmp_ne_u32_e32 vcc_lo, s5, v29
	s_mov_b32 s3, 1
	v_cndmask_b32_e64 v2, 0, 1, vcc_lo
	s_and_not1_b32 vcc_lo, exec_lo, s20
	ds_store_b32 v1, v2
	s_cbranch_vccnz .LBB0_558
; %bb.553:                              ;   in Loop: Header=BB0_3 Depth=1
	s_mov_b32 s16, s15
.LBB0_554:                              ;   Parent Loop BB0_3 Depth=1
                                        ; =>  This Inner Loop Header: Depth=2
	s_delay_alu instid0(SALU_CYCLE_1)
	s_lshr_b32 s17, s16, 1
	s_mov_b32 s22, exec_lo
	s_wait_storecnt_dscnt 0x0
	s_barrier_signal -1
	s_barrier_wait -1
	v_cmpx_gt_u32_e64 s17, v0
	s_cbranch_execz .LBB0_556
; %bb.555:                              ;   in Loop: Header=BB0_554 Depth=2
	v_mul_lo_u32 v3, s3, v34
	s_delay_alu instid0(VALU_DEP_1) | instskip(NEXT) | instid1(VALU_DEP_1)
	v_lshlrev_b32_e32 v3, 2, v3
	v_add3_u32 v3, 0, v3, -4
	s_delay_alu instid0(VALU_DEP_1)
	v_lshl_add_u32 v4, s3, 2, v3
	ds_load_b32 v3, v3
	ds_load_b32 v5, v4
	s_wait_dscnt 0x0
	v_add_nc_u32_e32 v3, v5, v3
	ds_store_b32 v4, v3
.LBB0_556:                              ;   in Loop: Header=BB0_554 Depth=2
	s_or_b32 exec_lo, exec_lo, s22
	s_lshl_b32 s3, s3, 1
	s_cmp_gt_u32 s16, 3
	s_cbranch_scc0 .LBB0_558
; %bb.557:                              ;   in Loop: Header=BB0_554 Depth=2
	s_mov_b32 s16, s17
	s_branch .LBB0_554
.LBB0_558:                              ;   in Loop: Header=BB0_3 Depth=1
	s_cmp_lt_i32 s3, s15
	s_cselect_b32 s16, -1, 0
	s_delay_alu instid0(SALU_CYCLE_1) | instskip(NEXT) | instid1(VALU_DEP_1)
	v_cndmask_b32_e64 v3, 0, 1, s16
	v_readfirstlane_b32 s16, v3
	s_lshl_b32 s17, s3, s16
	s_delay_alu instid0(SALU_CYCLE_1) | instskip(NEXT) | instid1(SALU_CYCLE_1)
	s_ashr_i32 s3, s17, 1
	s_cmp_lt_i32 s3, 1
	s_cbranch_scc1 .LBB0_563
; %bb.559:                              ;   in Loop: Header=BB0_3 Depth=1
	s_mov_b32 s16, 0
	s_branch .LBB0_561
.LBB0_560:                              ;   in Loop: Header=BB0_561 Depth=2
	s_or_b32 exec_lo, exec_lo, s23
	s_lshl_b32 s16, s16, 1
	s_mov_b32 s17, s22
	s_or_b32 s16, s16, 2
	s_delay_alu instid0(SALU_CYCLE_1)
	s_cmp_lt_i32 s16, s3
	s_cbranch_scc0 .LBB0_563
.LBB0_561:                              ;   Parent Loop BB0_3 Depth=1
                                        ; =>  This Inner Loop Header: Depth=2
	s_ashr_i32 s22, s17, 1
	s_mov_b32 s23, exec_lo
	s_wait_storecnt_dscnt 0x0
	s_barrier_signal -1
	s_barrier_wait -1
	v_cmpx_ge_u32_e64 s16, v0
	s_cbranch_execz .LBB0_560
; %bb.562:                              ;   in Loop: Header=BB0_561 Depth=2
	v_mul_lo_u32 v3, s22, v35
	s_and_b32 s17, s17, -4
	s_delay_alu instid0(VALU_DEP_1) | instskip(NEXT) | instid1(VALU_DEP_1)
	v_lshlrev_b32_e32 v3, 2, v3
	v_add3_u32 v3, 0, v3, -4
	s_delay_alu instid0(VALU_DEP_1)
	v_add_nc_u32_e32 v4, s17, v3
	ds_load_b32 v3, v3
	ds_load_b32 v5, v4
	s_wait_dscnt 0x0
	v_add_nc_u32_e32 v3, v5, v3
	ds_store_b32 v4, v3
	s_branch .LBB0_560
.LBB0_563:                              ;   in Loop: Header=BB0_3 Depth=1
	v_mov_b32_e32 v4, s19
	s_wait_storecnt_dscnt 0x0
	s_barrier_signal -1
	s_barrier_wait -1
	ds_load_b32 v3, v1
	ds_load_b32 v4, v4
	s_wait_dscnt 0x0
	s_barrier_signal -1
	s_barrier_wait -1
	s_and_saveexec_b32 s3, s1
	s_cbranch_execz .LBB0_565
; %bb.564:                              ;   in Loop: Header=BB0_3 Depth=1
	v_mov_b32_e32 v5, s19
	ds_load_b32 v6, v1
	ds_load_b32 v7, v5
	s_wait_dscnt 0x0
	v_add_nc_u32_e32 v6, v7, v6
	ds_store_b32 v5, v6
.LBB0_565:                              ;   in Loop: Header=BB0_3 Depth=1
	s_or_b32 exec_lo, exec_lo, s3
	s_delay_alu instid0(SALU_CYCLE_1)
	s_mov_b32 s3, exec_lo
	v_cmpx_ne_u32_e64 s5, v29
	s_cbranch_execz .LBB0_567
; %bb.566:                              ;   in Loop: Header=BB0_3 Depth=1
	v_sub_nc_u32_e32 v2, v3, v2
	s_delay_alu instid0(VALU_DEP_1)
	v_add_nc_u32_e32 v2, v2, v4
	global_store_b32 v2, v29, s[8:9] scale_offset
.LBB0_567:                              ;   in Loop: Header=BB0_3 Depth=1
	s_wait_xcnt 0x0
	s_or_b32 exec_lo, exec_lo, s3
	v_cmp_ne_u32_e32 vcc_lo, s5, v30
	s_mov_b32 s3, 1
	v_cndmask_b32_e64 v2, 0, 1, vcc_lo
	s_and_not1_b32 vcc_lo, exec_lo, s20
	ds_store_b32 v1, v2
	s_cbranch_vccnz .LBB0_573
; %bb.568:                              ;   in Loop: Header=BB0_3 Depth=1
	s_mov_b32 s16, s15
.LBB0_569:                              ;   Parent Loop BB0_3 Depth=1
                                        ; =>  This Inner Loop Header: Depth=2
	s_delay_alu instid0(SALU_CYCLE_1)
	s_lshr_b32 s17, s16, 1
	s_mov_b32 s22, exec_lo
	s_wait_storecnt_dscnt 0x0
	s_barrier_signal -1
	s_barrier_wait -1
	v_cmpx_gt_u32_e64 s17, v0
	s_cbranch_execz .LBB0_571
; %bb.570:                              ;   in Loop: Header=BB0_569 Depth=2
	v_mul_lo_u32 v3, s3, v34
	s_delay_alu instid0(VALU_DEP_1) | instskip(NEXT) | instid1(VALU_DEP_1)
	v_lshlrev_b32_e32 v3, 2, v3
	v_add3_u32 v3, 0, v3, -4
	s_delay_alu instid0(VALU_DEP_1)
	v_lshl_add_u32 v4, s3, 2, v3
	ds_load_b32 v3, v3
	ds_load_b32 v5, v4
	s_wait_dscnt 0x0
	v_add_nc_u32_e32 v3, v5, v3
	ds_store_b32 v4, v3
.LBB0_571:                              ;   in Loop: Header=BB0_569 Depth=2
	s_or_b32 exec_lo, exec_lo, s22
	s_lshl_b32 s3, s3, 1
	s_cmp_gt_u32 s16, 3
	s_cbranch_scc0 .LBB0_573
; %bb.572:                              ;   in Loop: Header=BB0_569 Depth=2
	s_mov_b32 s16, s17
	s_branch .LBB0_569
.LBB0_573:                              ;   in Loop: Header=BB0_3 Depth=1
	s_cmp_lt_i32 s3, s15
	s_cselect_b32 s16, -1, 0
	s_delay_alu instid0(SALU_CYCLE_1) | instskip(NEXT) | instid1(VALU_DEP_1)
	v_cndmask_b32_e64 v3, 0, 1, s16
	v_readfirstlane_b32 s16, v3
	s_lshl_b32 s17, s3, s16
	s_delay_alu instid0(SALU_CYCLE_1) | instskip(NEXT) | instid1(SALU_CYCLE_1)
	s_ashr_i32 s3, s17, 1
	s_cmp_lt_i32 s3, 1
	s_cbranch_scc1 .LBB0_578
; %bb.574:                              ;   in Loop: Header=BB0_3 Depth=1
	s_mov_b32 s16, 0
	s_branch .LBB0_576
.LBB0_575:                              ;   in Loop: Header=BB0_576 Depth=2
	s_or_b32 exec_lo, exec_lo, s23
	s_lshl_b32 s16, s16, 1
	s_mov_b32 s17, s22
	s_or_b32 s16, s16, 2
	s_delay_alu instid0(SALU_CYCLE_1)
	s_cmp_lt_i32 s16, s3
	s_cbranch_scc0 .LBB0_578
.LBB0_576:                              ;   Parent Loop BB0_3 Depth=1
                                        ; =>  This Inner Loop Header: Depth=2
	s_ashr_i32 s22, s17, 1
	s_mov_b32 s23, exec_lo
	s_wait_storecnt_dscnt 0x0
	s_barrier_signal -1
	s_barrier_wait -1
	v_cmpx_ge_u32_e64 s16, v0
	s_cbranch_execz .LBB0_575
; %bb.577:                              ;   in Loop: Header=BB0_576 Depth=2
	v_mul_lo_u32 v3, s22, v35
	s_and_b32 s17, s17, -4
	s_delay_alu instid0(VALU_DEP_1) | instskip(NEXT) | instid1(VALU_DEP_1)
	v_lshlrev_b32_e32 v3, 2, v3
	v_add3_u32 v3, 0, v3, -4
	s_delay_alu instid0(VALU_DEP_1)
	v_add_nc_u32_e32 v4, s17, v3
	ds_load_b32 v3, v3
	ds_load_b32 v5, v4
	s_wait_dscnt 0x0
	v_add_nc_u32_e32 v3, v5, v3
	ds_store_b32 v4, v3
	s_branch .LBB0_575
.LBB0_578:                              ;   in Loop: Header=BB0_3 Depth=1
	v_mov_b32_e32 v4, s19
	s_wait_storecnt_dscnt 0x0
	s_barrier_signal -1
	s_barrier_wait -1
	ds_load_b32 v3, v1
	ds_load_b32 v4, v4
	s_wait_dscnt 0x0
	s_barrier_signal -1
	s_barrier_wait -1
	s_and_saveexec_b32 s3, s1
	s_cbranch_execz .LBB0_580
; %bb.579:                              ;   in Loop: Header=BB0_3 Depth=1
	v_mov_b32_e32 v5, s19
	ds_load_b32 v6, v1
	ds_load_b32 v7, v5
	s_wait_dscnt 0x0
	v_add_nc_u32_e32 v6, v7, v6
	ds_store_b32 v5, v6
.LBB0_580:                              ;   in Loop: Header=BB0_3 Depth=1
	s_or_b32 exec_lo, exec_lo, s3
	s_delay_alu instid0(SALU_CYCLE_1)
	s_mov_b32 s3, exec_lo
	v_cmpx_ne_u32_e64 s5, v30
	s_cbranch_execz .LBB0_582
; %bb.581:                              ;   in Loop: Header=BB0_3 Depth=1
	v_sub_nc_u32_e32 v2, v3, v2
	s_delay_alu instid0(VALU_DEP_1)
	v_add_nc_u32_e32 v2, v2, v4
	global_store_b32 v2, v30, s[8:9] scale_offset
.LBB0_582:                              ;   in Loop: Header=BB0_3 Depth=1
	s_wait_xcnt 0x0
	s_or_b32 exec_lo, exec_lo, s3
	v_cmp_ne_u32_e32 vcc_lo, s5, v31
	s_mov_b32 s3, 1
	v_cndmask_b32_e64 v2, 0, 1, vcc_lo
	s_and_not1_b32 vcc_lo, exec_lo, s20
	ds_store_b32 v1, v2
	s_cbranch_vccnz .LBB0_588
; %bb.583:                              ;   in Loop: Header=BB0_3 Depth=1
	s_mov_b32 s16, s15
.LBB0_584:                              ;   Parent Loop BB0_3 Depth=1
                                        ; =>  This Inner Loop Header: Depth=2
	s_delay_alu instid0(SALU_CYCLE_1)
	s_lshr_b32 s17, s16, 1
	s_mov_b32 s22, exec_lo
	s_wait_storecnt_dscnt 0x0
	s_barrier_signal -1
	s_barrier_wait -1
	v_cmpx_gt_u32_e64 s17, v0
	s_cbranch_execz .LBB0_586
; %bb.585:                              ;   in Loop: Header=BB0_584 Depth=2
	v_mul_lo_u32 v3, s3, v34
	s_delay_alu instid0(VALU_DEP_1) | instskip(NEXT) | instid1(VALU_DEP_1)
	v_lshlrev_b32_e32 v3, 2, v3
	v_add3_u32 v3, 0, v3, -4
	s_delay_alu instid0(VALU_DEP_1)
	v_lshl_add_u32 v4, s3, 2, v3
	ds_load_b32 v3, v3
	ds_load_b32 v5, v4
	s_wait_dscnt 0x0
	v_add_nc_u32_e32 v3, v5, v3
	ds_store_b32 v4, v3
.LBB0_586:                              ;   in Loop: Header=BB0_584 Depth=2
	s_or_b32 exec_lo, exec_lo, s22
	s_lshl_b32 s3, s3, 1
	s_cmp_gt_u32 s16, 3
	s_cbranch_scc0 .LBB0_588
; %bb.587:                              ;   in Loop: Header=BB0_584 Depth=2
	s_mov_b32 s16, s17
	s_branch .LBB0_584
.LBB0_588:                              ;   in Loop: Header=BB0_3 Depth=1
	s_cmp_lt_i32 s3, s15
	s_cselect_b32 s16, -1, 0
	s_delay_alu instid0(SALU_CYCLE_1) | instskip(NEXT) | instid1(VALU_DEP_1)
	v_cndmask_b32_e64 v3, 0, 1, s16
	v_readfirstlane_b32 s16, v3
	s_lshl_b32 s17, s3, s16
	s_delay_alu instid0(SALU_CYCLE_1) | instskip(NEXT) | instid1(SALU_CYCLE_1)
	s_ashr_i32 s3, s17, 1
	s_cmp_lt_i32 s3, 1
	s_cbranch_scc1 .LBB0_593
; %bb.589:                              ;   in Loop: Header=BB0_3 Depth=1
	s_mov_b32 s16, 0
	s_branch .LBB0_591
.LBB0_590:                              ;   in Loop: Header=BB0_591 Depth=2
	s_or_b32 exec_lo, exec_lo, s23
	s_lshl_b32 s16, s16, 1
	s_mov_b32 s17, s22
	s_or_b32 s16, s16, 2
	s_delay_alu instid0(SALU_CYCLE_1)
	s_cmp_lt_i32 s16, s3
	s_cbranch_scc0 .LBB0_593
.LBB0_591:                              ;   Parent Loop BB0_3 Depth=1
                                        ; =>  This Inner Loop Header: Depth=2
	s_ashr_i32 s22, s17, 1
	s_mov_b32 s23, exec_lo
	s_wait_storecnt_dscnt 0x0
	s_barrier_signal -1
	s_barrier_wait -1
	v_cmpx_ge_u32_e64 s16, v0
	s_cbranch_execz .LBB0_590
; %bb.592:                              ;   in Loop: Header=BB0_591 Depth=2
	v_mul_lo_u32 v3, s22, v35
	s_and_b32 s17, s17, -4
	s_delay_alu instid0(VALU_DEP_1) | instskip(NEXT) | instid1(VALU_DEP_1)
	v_lshlrev_b32_e32 v3, 2, v3
	v_add3_u32 v3, 0, v3, -4
	s_delay_alu instid0(VALU_DEP_1)
	v_add_nc_u32_e32 v4, s17, v3
	ds_load_b32 v3, v3
	ds_load_b32 v5, v4
	s_wait_dscnt 0x0
	v_add_nc_u32_e32 v3, v5, v3
	ds_store_b32 v4, v3
	s_branch .LBB0_590
.LBB0_593:                              ;   in Loop: Header=BB0_3 Depth=1
	v_mov_b32_e32 v4, s19
	s_wait_storecnt_dscnt 0x0
	s_barrier_signal -1
	s_barrier_wait -1
	ds_load_b32 v3, v1
	ds_load_b32 v4, v4
	s_wait_dscnt 0x0
	s_barrier_signal -1
	s_barrier_wait -1
	s_and_saveexec_b32 s3, s1
	s_cbranch_execz .LBB0_595
; %bb.594:                              ;   in Loop: Header=BB0_3 Depth=1
	v_mov_b32_e32 v5, s19
	ds_load_b32 v6, v1
	ds_load_b32 v7, v5
	s_wait_dscnt 0x0
	v_add_nc_u32_e32 v6, v7, v6
	ds_store_b32 v5, v6
.LBB0_595:                              ;   in Loop: Header=BB0_3 Depth=1
	s_or_b32 exec_lo, exec_lo, s3
	s_delay_alu instid0(SALU_CYCLE_1)
	s_mov_b32 s3, exec_lo
	v_cmpx_ne_u32_e64 s5, v31
	s_cbranch_execz .LBB0_597
; %bb.596:                              ;   in Loop: Header=BB0_3 Depth=1
	v_sub_nc_u32_e32 v2, v3, v2
	s_delay_alu instid0(VALU_DEP_1)
	v_add_nc_u32_e32 v2, v2, v4
	global_store_b32 v2, v31, s[8:9] scale_offset
.LBB0_597:                              ;   in Loop: Header=BB0_3 Depth=1
	s_wait_xcnt 0x0
	s_or_b32 exec_lo, exec_lo, s3
	v_cmp_ne_u32_e32 vcc_lo, s5, v32
	s_mov_b32 s3, 1
	v_cndmask_b32_e64 v2, 0, 1, vcc_lo
	s_and_not1_b32 vcc_lo, exec_lo, s20
	ds_store_b32 v1, v2
	s_cbranch_vccnz .LBB0_603
; %bb.598:                              ;   in Loop: Header=BB0_3 Depth=1
	s_mov_b32 s16, s15
.LBB0_599:                              ;   Parent Loop BB0_3 Depth=1
                                        ; =>  This Inner Loop Header: Depth=2
	s_delay_alu instid0(SALU_CYCLE_1)
	s_lshr_b32 s17, s16, 1
	s_mov_b32 s22, exec_lo
	s_wait_storecnt_dscnt 0x0
	s_barrier_signal -1
	s_barrier_wait -1
	v_cmpx_gt_u32_e64 s17, v0
	s_cbranch_execz .LBB0_601
; %bb.600:                              ;   in Loop: Header=BB0_599 Depth=2
	v_mul_lo_u32 v3, s3, v34
	s_delay_alu instid0(VALU_DEP_1) | instskip(NEXT) | instid1(VALU_DEP_1)
	v_lshlrev_b32_e32 v3, 2, v3
	v_add3_u32 v3, 0, v3, -4
	s_delay_alu instid0(VALU_DEP_1)
	v_lshl_add_u32 v4, s3, 2, v3
	ds_load_b32 v3, v3
	ds_load_b32 v5, v4
	s_wait_dscnt 0x0
	v_add_nc_u32_e32 v3, v5, v3
	ds_store_b32 v4, v3
.LBB0_601:                              ;   in Loop: Header=BB0_599 Depth=2
	s_or_b32 exec_lo, exec_lo, s22
	s_lshl_b32 s3, s3, 1
	s_cmp_gt_u32 s16, 3
	s_cbranch_scc0 .LBB0_603
; %bb.602:                              ;   in Loop: Header=BB0_599 Depth=2
	s_mov_b32 s16, s17
	s_branch .LBB0_599
.LBB0_603:                              ;   in Loop: Header=BB0_3 Depth=1
	s_cmp_lt_i32 s3, s15
	s_cselect_b32 s16, -1, 0
	s_delay_alu instid0(SALU_CYCLE_1) | instskip(NEXT) | instid1(VALU_DEP_1)
	v_cndmask_b32_e64 v3, 0, 1, s16
	v_readfirstlane_b32 s16, v3
	s_lshl_b32 s17, s3, s16
	s_delay_alu instid0(SALU_CYCLE_1) | instskip(NEXT) | instid1(SALU_CYCLE_1)
	s_ashr_i32 s3, s17, 1
	s_cmp_lt_i32 s3, 1
	s_cbranch_scc1 .LBB0_608
; %bb.604:                              ;   in Loop: Header=BB0_3 Depth=1
	s_mov_b32 s16, 0
	s_branch .LBB0_606
.LBB0_605:                              ;   in Loop: Header=BB0_606 Depth=2
	s_or_b32 exec_lo, exec_lo, s23
	s_lshl_b32 s16, s16, 1
	s_mov_b32 s17, s22
	s_or_b32 s16, s16, 2
	s_delay_alu instid0(SALU_CYCLE_1)
	s_cmp_lt_i32 s16, s3
	s_cbranch_scc0 .LBB0_608
.LBB0_606:                              ;   Parent Loop BB0_3 Depth=1
                                        ; =>  This Inner Loop Header: Depth=2
	s_ashr_i32 s22, s17, 1
	s_mov_b32 s23, exec_lo
	s_wait_storecnt_dscnt 0x0
	s_barrier_signal -1
	s_barrier_wait -1
	v_cmpx_ge_u32_e64 s16, v0
	s_cbranch_execz .LBB0_605
; %bb.607:                              ;   in Loop: Header=BB0_606 Depth=2
	v_mul_lo_u32 v3, s22, v35
	s_and_b32 s17, s17, -4
	s_delay_alu instid0(VALU_DEP_1) | instskip(NEXT) | instid1(VALU_DEP_1)
	v_lshlrev_b32_e32 v3, 2, v3
	v_add3_u32 v3, 0, v3, -4
	s_delay_alu instid0(VALU_DEP_1)
	v_add_nc_u32_e32 v4, s17, v3
	ds_load_b32 v3, v3
	ds_load_b32 v5, v4
	s_wait_dscnt 0x0
	v_add_nc_u32_e32 v3, v5, v3
	ds_store_b32 v4, v3
	s_branch .LBB0_605
.LBB0_608:                              ;   in Loop: Header=BB0_3 Depth=1
	v_mov_b32_e32 v4, s19
	s_wait_storecnt_dscnt 0x0
	s_barrier_signal -1
	s_barrier_wait -1
	ds_load_b32 v3, v1
	ds_load_b32 v4, v4
	s_wait_dscnt 0x0
	s_barrier_signal -1
	s_barrier_wait -1
	s_and_saveexec_b32 s3, s1
	s_cbranch_execz .LBB0_610
; %bb.609:                              ;   in Loop: Header=BB0_3 Depth=1
	v_mov_b32_e32 v5, s19
	ds_load_b32 v6, v1
	ds_load_b32 v7, v5
	s_wait_dscnt 0x0
	v_add_nc_u32_e32 v6, v7, v6
	ds_store_b32 v5, v6
.LBB0_610:                              ;   in Loop: Header=BB0_3 Depth=1
	s_or_b32 exec_lo, exec_lo, s3
	s_delay_alu instid0(SALU_CYCLE_1)
	s_mov_b32 s3, exec_lo
	v_cmpx_ne_u32_e64 s5, v32
	s_cbranch_execz .LBB0_612
; %bb.611:                              ;   in Loop: Header=BB0_3 Depth=1
	v_sub_nc_u32_e32 v2, v3, v2
	s_delay_alu instid0(VALU_DEP_1)
	v_add_nc_u32_e32 v2, v2, v4
	global_store_b32 v2, v32, s[8:9] scale_offset
.LBB0_612:                              ;   in Loop: Header=BB0_3 Depth=1
	s_wait_xcnt 0x0
	s_or_b32 exec_lo, exec_lo, s3
	v_cmp_ne_u32_e32 vcc_lo, s5, v33
	s_mov_b32 s3, 1
	v_cndmask_b32_e64 v2, 0, 1, vcc_lo
	s_and_not1_b32 vcc_lo, exec_lo, s20
	ds_store_b32 v1, v2
	s_cbranch_vccnz .LBB0_618
; %bb.613:                              ;   in Loop: Header=BB0_3 Depth=1
	s_mov_b32 s16, s15
.LBB0_614:                              ;   Parent Loop BB0_3 Depth=1
                                        ; =>  This Inner Loop Header: Depth=2
	s_delay_alu instid0(SALU_CYCLE_1)
	s_lshr_b32 s17, s16, 1
	s_mov_b32 s22, exec_lo
	s_wait_storecnt_dscnt 0x0
	s_barrier_signal -1
	s_barrier_wait -1
	v_cmpx_gt_u32_e64 s17, v0
	s_cbranch_execz .LBB0_616
; %bb.615:                              ;   in Loop: Header=BB0_614 Depth=2
	v_mul_lo_u32 v3, s3, v34
	s_delay_alu instid0(VALU_DEP_1) | instskip(NEXT) | instid1(VALU_DEP_1)
	v_lshlrev_b32_e32 v3, 2, v3
	v_add3_u32 v3, 0, v3, -4
	s_delay_alu instid0(VALU_DEP_1)
	v_lshl_add_u32 v4, s3, 2, v3
	ds_load_b32 v3, v3
	ds_load_b32 v5, v4
	s_wait_dscnt 0x0
	v_add_nc_u32_e32 v3, v5, v3
	ds_store_b32 v4, v3
.LBB0_616:                              ;   in Loop: Header=BB0_614 Depth=2
	s_or_b32 exec_lo, exec_lo, s22
	s_lshl_b32 s3, s3, 1
	s_cmp_gt_u32 s16, 3
	s_cbranch_scc0 .LBB0_618
; %bb.617:                              ;   in Loop: Header=BB0_614 Depth=2
	s_mov_b32 s16, s17
	s_branch .LBB0_614
.LBB0_618:                              ;   in Loop: Header=BB0_3 Depth=1
	s_cmp_lt_i32 s3, s15
	s_cselect_b32 s16, -1, 0
	s_delay_alu instid0(SALU_CYCLE_1) | instskip(NEXT) | instid1(VALU_DEP_1)
	v_cndmask_b32_e64 v3, 0, 1, s16
	v_readfirstlane_b32 s16, v3
	s_lshl_b32 s17, s3, s16
	s_delay_alu instid0(SALU_CYCLE_1) | instskip(NEXT) | instid1(SALU_CYCLE_1)
	s_ashr_i32 s3, s17, 1
	s_cmp_lt_i32 s3, 1
	s_cbranch_scc1 .LBB0_623
; %bb.619:                              ;   in Loop: Header=BB0_3 Depth=1
	s_mov_b32 s16, 0
	s_branch .LBB0_621
.LBB0_620:                              ;   in Loop: Header=BB0_621 Depth=2
	s_or_b32 exec_lo, exec_lo, s23
	s_lshl_b32 s16, s16, 1
	s_mov_b32 s17, s22
	s_or_b32 s16, s16, 2
	s_delay_alu instid0(SALU_CYCLE_1)
	s_cmp_lt_i32 s16, s3
	s_cbranch_scc0 .LBB0_623
.LBB0_621:                              ;   Parent Loop BB0_3 Depth=1
                                        ; =>  This Inner Loop Header: Depth=2
	s_ashr_i32 s22, s17, 1
	s_mov_b32 s23, exec_lo
	s_wait_storecnt_dscnt 0x0
	s_barrier_signal -1
	s_barrier_wait -1
	v_cmpx_ge_u32_e64 s16, v0
	s_cbranch_execz .LBB0_620
; %bb.622:                              ;   in Loop: Header=BB0_621 Depth=2
	v_mul_lo_u32 v3, s22, v35
	s_and_b32 s17, s17, -4
	s_delay_alu instid0(VALU_DEP_1) | instskip(NEXT) | instid1(VALU_DEP_1)
	v_lshlrev_b32_e32 v3, 2, v3
	v_add3_u32 v3, 0, v3, -4
	s_delay_alu instid0(VALU_DEP_1)
	v_add_nc_u32_e32 v4, s17, v3
	ds_load_b32 v3, v3
	ds_load_b32 v5, v4
	s_wait_dscnt 0x0
	v_add_nc_u32_e32 v3, v5, v3
	ds_store_b32 v4, v3
	s_branch .LBB0_620
.LBB0_623:                              ;   in Loop: Header=BB0_3 Depth=1
	v_mov_b32_e32 v4, s19
	s_wait_storecnt_dscnt 0x0
	s_barrier_signal -1
	s_barrier_wait -1
	ds_load_b32 v3, v1
	ds_load_b32 v4, v4
	s_wait_dscnt 0x0
	s_barrier_signal -1
	s_barrier_wait -1
	s_and_saveexec_b32 s3, s1
	s_cbranch_execnz .LBB0_625
; %bb.624:                              ;   in Loop: Header=BB0_3 Depth=1
	s_or_b32 exec_lo, exec_lo, s3
	s_delay_alu instid0(SALU_CYCLE_1)
	s_mov_b32 s3, exec_lo
	v_cmpx_ne_u32_e64 s5, v33
	s_cbranch_execz .LBB0_2
	s_branch .LBB0_626
.LBB0_625:                              ;   in Loop: Header=BB0_3 Depth=1
	v_mov_b32_e32 v5, s19
	ds_load_b32 v6, v1
	ds_load_b32 v7, v5
	s_wait_dscnt 0x0
	v_add_nc_u32_e32 v6, v7, v6
	ds_store_b32 v5, v6
	s_or_b32 exec_lo, exec_lo, s3
	s_delay_alu instid0(SALU_CYCLE_1)
	s_mov_b32 s3, exec_lo
	v_cmpx_ne_u32_e64 s5, v33
	s_cbranch_execz .LBB0_2
.LBB0_626:                              ;   in Loop: Header=BB0_3 Depth=1
	v_sub_nc_u32_e32 v2, v3, v2
	s_delay_alu instid0(VALU_DEP_1)
	v_add_nc_u32_e32 v2, v2, v4
	global_store_b32 v2, v33, s[8:9] scale_offset
	s_branch .LBB0_2
.LBB0_627:
	s_endpgm
	.section	.rodata,"a",@progbits
	.p2align	6, 0x0
	.amdhsa_kernel _Z16StreamCompactioniiifPiPKiS_
		.amdhsa_group_segment_fixed_size 0
		.amdhsa_private_segment_fixed_size 0
		.amdhsa_kernarg_size 296
		.amdhsa_user_sgpr_count 2
		.amdhsa_user_sgpr_dispatch_ptr 0
		.amdhsa_user_sgpr_queue_ptr 0
		.amdhsa_user_sgpr_kernarg_segment_ptr 1
		.amdhsa_user_sgpr_dispatch_id 0
		.amdhsa_user_sgpr_kernarg_preload_length 0
		.amdhsa_user_sgpr_kernarg_preload_offset 0
		.amdhsa_user_sgpr_private_segment_size 0
		.amdhsa_wavefront_size32 1
		.amdhsa_uses_dynamic_stack 0
		.amdhsa_enable_private_segment 0
		.amdhsa_system_sgpr_workgroup_id_x 1
		.amdhsa_system_sgpr_workgroup_id_y 0
		.amdhsa_system_sgpr_workgroup_id_z 0
		.amdhsa_system_sgpr_workgroup_info 0
		.amdhsa_system_vgpr_workitem_id 0
		.amdhsa_next_free_vgpr 43
		.amdhsa_next_free_sgpr 27
		.amdhsa_named_barrier_count 0
		.amdhsa_reserve_vcc 1
		.amdhsa_float_round_mode_32 0
		.amdhsa_float_round_mode_16_64 0
		.amdhsa_float_denorm_mode_32 3
		.amdhsa_float_denorm_mode_16_64 3
		.amdhsa_fp16_overflow 0
		.amdhsa_memory_ordered 1
		.amdhsa_forward_progress 1
		.amdhsa_inst_pref_size 147
		.amdhsa_round_robin_scheduling 0
		.amdhsa_exception_fp_ieee_invalid_op 0
		.amdhsa_exception_fp_denorm_src 0
		.amdhsa_exception_fp_ieee_div_zero 0
		.amdhsa_exception_fp_ieee_overflow 0
		.amdhsa_exception_fp_ieee_underflow 0
		.amdhsa_exception_fp_ieee_inexact 0
		.amdhsa_exception_int_div_zero 0
	.end_amdhsa_kernel
	.text
.Lfunc_end0:
	.size	_Z16StreamCompactioniiifPiPKiS_, .Lfunc_end0-_Z16StreamCompactioniiifPiPKiS_
                                        ; -- End function
	.set _Z16StreamCompactioniiifPiPKiS_.num_vgpr, 43
	.set _Z16StreamCompactioniiifPiPKiS_.num_agpr, 0
	.set _Z16StreamCompactioniiifPiPKiS_.numbered_sgpr, 27
	.set _Z16StreamCompactioniiifPiPKiS_.num_named_barrier, 0
	.set _Z16StreamCompactioniiifPiPKiS_.private_seg_size, 0
	.set _Z16StreamCompactioniiifPiPKiS_.uses_vcc, 1
	.set _Z16StreamCompactioniiifPiPKiS_.uses_flat_scratch, 0
	.set _Z16StreamCompactioniiifPiPKiS_.has_dyn_sized_stack, 0
	.set _Z16StreamCompactioniiifPiPKiS_.has_recursion, 0
	.set _Z16StreamCompactioniiifPiPKiS_.has_indirect_call, 0
	.section	.AMDGPU.csdata,"",@progbits
; Kernel info:
; codeLenInByte = 18732
; TotalNumSgprs: 29
; NumVgprs: 43
; ScratchSize: 0
; MemoryBound: 0
; FloatMode: 240
; IeeeMode: 1
; LDSByteSize: 0 bytes/workgroup (compile time only)
; SGPRBlocks: 0
; VGPRBlocks: 2
; NumSGPRsForWavesPerEU: 29
; NumVGPRsForWavesPerEU: 43
; NamedBarCnt: 0
; Occupancy: 16
; WaveLimiterHint : 0
; COMPUTE_PGM_RSRC2:SCRATCH_EN: 0
; COMPUTE_PGM_RSRC2:USER_SGPR: 2
; COMPUTE_PGM_RSRC2:TRAP_HANDLER: 0
; COMPUTE_PGM_RSRC2:TGID_X_EN: 1
; COMPUTE_PGM_RSRC2:TGID_Y_EN: 0
; COMPUTE_PGM_RSRC2:TGID_Z_EN: 0
; COMPUTE_PGM_RSRC2:TIDIG_COMP_CNT: 0
	.text
	.p2alignl 7, 3214868480
	.fill 96, 4, 3214868480
	.section	.AMDGPU.gpr_maximums,"",@progbits
	.set amdgpu.max_num_vgpr, 0
	.set amdgpu.max_num_agpr, 0
	.set amdgpu.max_num_sgpr, 0
	.text
	.type	__hip_cuid_21cb1142677ee6f8,@object ; @__hip_cuid_21cb1142677ee6f8
	.section	.bss,"aw",@nobits
	.globl	__hip_cuid_21cb1142677ee6f8
__hip_cuid_21cb1142677ee6f8:
	.byte	0                               ; 0x0
	.size	__hip_cuid_21cb1142677ee6f8, 1

	.ident	"AMD clang version 22.0.0git (https://github.com/RadeonOpenCompute/llvm-project roc-7.2.4 26084 f58b06dce1f9c15707c5f808fd002e18c2accf7e)"
	.section	".note.GNU-stack","",@progbits
	.addrsig
	.addrsig_sym __hip_cuid_21cb1142677ee6f8
	.amdgpu_metadata
---
amdhsa.kernels:
  - .args:
      - .offset:         0
        .size:           4
        .value_kind:     by_value
      - .offset:         4
        .size:           4
        .value_kind:     by_value
      - .offset:         8
        .size:           4
        .value_kind:     by_value
      - .offset:         12
        .size:           4
        .value_kind:     by_value
      - .actual_access:  write_only
        .address_space:  global
        .offset:         16
        .size:           8
        .value_kind:     global_buffer
      - .actual_access:  read_only
        .address_space:  global
        .offset:         24
        .size:           8
        .value_kind:     global_buffer
      - .address_space:  global
        .offset:         32
        .size:           8
        .value_kind:     global_buffer
      - .offset:         40
        .size:           4
        .value_kind:     hidden_block_count_x
      - .offset:         44
        .size:           4
        .value_kind:     hidden_block_count_y
      - .offset:         48
        .size:           4
        .value_kind:     hidden_block_count_z
      - .offset:         52
        .size:           2
        .value_kind:     hidden_group_size_x
      - .offset:         54
        .size:           2
        .value_kind:     hidden_group_size_y
      - .offset:         56
        .size:           2
        .value_kind:     hidden_group_size_z
      - .offset:         58
        .size:           2
        .value_kind:     hidden_remainder_x
      - .offset:         60
        .size:           2
        .value_kind:     hidden_remainder_y
      - .offset:         62
        .size:           2
        .value_kind:     hidden_remainder_z
      - .offset:         80
        .size:           8
        .value_kind:     hidden_global_offset_x
      - .offset:         88
        .size:           8
        .value_kind:     hidden_global_offset_y
      - .offset:         96
        .size:           8
        .value_kind:     hidden_global_offset_z
      - .offset:         104
        .size:           2
        .value_kind:     hidden_grid_dims
      - .offset:         160
        .size:           4
        .value_kind:     hidden_dynamic_lds_size
    .group_segment_fixed_size: 0
    .kernarg_segment_align: 8
    .kernarg_segment_size: 296
    .language:       OpenCL C
    .language_version:
      - 2
      - 0
    .max_flat_workgroup_size: 1024
    .name:           _Z16StreamCompactioniiifPiPKiS_
    .private_segment_fixed_size: 0
    .sgpr_count:     29
    .sgpr_spill_count: 0
    .symbol:         _Z16StreamCompactioniiifPiPKiS_.kd
    .uniform_work_group_size: 1
    .uses_dynamic_stack: false
    .vgpr_count:     43
    .vgpr_spill_count: 0
    .wavefront_size: 32
amdhsa.target:   amdgcn-amd-amdhsa--gfx1250
amdhsa.version:
  - 1
  - 2
...

	.end_amdgpu_metadata
